;; amdgpu-corpus repo=ROCm/rocFFT kind=compiled arch=gfx906 opt=O3
	.text
	.amdgcn_target "amdgcn-amd-amdhsa--gfx906"
	.amdhsa_code_object_version 6
	.protected	bluestein_single_fwd_len1925_dim1_half_op_CI_CI ; -- Begin function bluestein_single_fwd_len1925_dim1_half_op_CI_CI
	.globl	bluestein_single_fwd_len1925_dim1_half_op_CI_CI
	.p2align	8
	.type	bluestein_single_fwd_len1925_dim1_half_op_CI_CI,@function
bluestein_single_fwd_len1925_dim1_half_op_CI_CI: ; @bluestein_single_fwd_len1925_dim1_half_op_CI_CI
; %bb.0:
	s_load_dwordx4 s[8:11], s[4:5], 0x28
	s_mov_b64 s[30:31], s[2:3]
	v_mul_u32_u24_e32 v1, 0x4a8, v0
	s_mov_b64 s[28:29], s[0:1]
	v_add_u32_sdwa v88, s6, v1 dst_sel:DWORD dst_unused:UNUSED_PAD src0_sel:DWORD src1_sel:WORD_1
	v_mov_b32_e32 v89, 0
	s_add_u32 s28, s28, s7
	s_waitcnt lgkmcnt(0)
	v_cmp_gt_u64_e32 vcc, s[8:9], v[88:89]
	s_addc_u32 s29, s29, 0
	s_and_saveexec_b64 s[0:1], vcc
	s_cbranch_execz .LBB0_10
; %bb.1:
	s_load_dwordx4 s[16:19], s[4:5], 0x18
	s_load_dwordx4 s[12:15], s[4:5], 0x0
	v_mov_b32_e32 v2, 55
	v_mul_lo_u16_sdwa v1, v1, v2 dst_sel:DWORD dst_unused:UNUSED_PAD src0_sel:WORD_1 src1_sel:DWORD
	v_sub_u16_e32 v174, v0, v1
	s_waitcnt lgkmcnt(0)
	s_load_dwordx4 s[0:3], s[16:17], 0x0
	v_lshlrev_b32_e32 v139, 2, v174
	global_load_dword v175, v139, s[12:13]
	v_mov_b32_e32 v7, s13
	v_add_u32_e32 v29, 0x1000, v139
	s_waitcnt lgkmcnt(0)
	v_mad_u64_u32 v[0:1], s[6:7], s2, v88, 0
	v_mad_u64_u32 v[2:3], s[6:7], s0, v174, 0
	s_mul_hi_u32 s6, s0, 0x44c
	s_mul_i32 s7, s0, 0x44c
	v_mad_u64_u32 v[4:5], s[2:3], s3, v88, v[1:2]
	s_movk_i32 s16, 0x39e0
	s_movk_i32 s17, 0x3b00
	v_mad_u64_u32 v[5:6], s[2:3], s1, v174, v[3:4]
	v_mov_b32_e32 v1, v4
	v_lshlrev_b64 v[0:1], 2, v[0:1]
	v_mov_b32_e32 v6, s11
	v_mov_b32_e32 v3, v5
	v_add_co_u32_e32 v4, vcc, s10, v0
	v_addc_co_u32_e32 v5, vcc, v6, v1, vcc
	v_lshlrev_b64 v[0:1], 2, v[2:3]
	s_mul_i32 s2, s1, 0x44c
	v_add_co_u32_e32 v0, vcc, v4, v0
	v_addc_co_u32_e32 v1, vcc, v5, v1, vcc
	global_load_dword v4, v[0:1], off
	s_add_i32 s6, s6, s2
	v_mov_b32_e32 v2, s6
	v_add_co_u32_e32 v0, vcc, s7, v0
	v_addc_co_u32_e32 v1, vcc, v1, v2, vcc
	global_load_dword v5, v[0:1], off
	global_load_dword v173, v139, s[12:13] offset:1100
	v_add_co_u32_e32 v0, vcc, s7, v0
	v_addc_co_u32_e32 v1, vcc, v1, v2, vcc
	global_load_dword v6, v[0:1], off
	global_load_dword v172, v139, s[12:13] offset:2200
	global_load_dword v170, v139, s[12:13] offset:3300
	v_add_co_u32_e32 v0, vcc, s7, v0
	v_addc_co_u32_e32 v1, vcc, v1, v2, vcc
	global_load_dword v8, v[0:1], off
	v_mov_b32_e32 v3, s6
	v_add_co_u32_e32 v2, vcc, s7, v0
	v_addc_co_u32_e32 v3, vcc, v1, v3, vcc
	global_load_dword v9, v[2:3], off
	v_add_co_u32_e32 v0, vcc, s12, v139
	s_movk_i32 s2, 0x1000
	v_addc_co_u32_e32 v1, vcc, 0, v7, vcc
	v_add_co_u32_e32 v0, vcc, s2, v0
	v_addc_co_u32_e32 v1, vcc, 0, v1, vcc
	global_load_dword v169, v[0:1], off offset:304
	v_mov_b32_e32 v7, s6
	v_add_co_u32_e32 v2, vcc, s7, v2
	v_addc_co_u32_e32 v3, vcc, v3, v7, vcc
	global_load_dword v7, v[2:3], off
	global_load_dword v168, v[0:1], off offset:1404
	v_mov_b32_e32 v10, s6
	v_add_co_u32_e32 v2, vcc, s7, v2
	v_addc_co_u32_e32 v3, vcc, v3, v10, vcc
	s_load_dwordx2 s[2:3], s[4:5], 0x38
	s_load_dwordx4 s[8:11], s[18:19], 0x0
	global_load_dword v163, v139, s[12:13] offset:1320
	global_load_dword v157, v139, s[12:13] offset:1540
	global_load_dword v10, v[2:3], off
	global_load_dword v166, v139, s[12:13] offset:220
	global_load_dword v159, v139, s[12:13] offset:440
	;; [unrolled: 1-line block ×4, first 2 shown]
	global_load_dword v171, v[0:1], off offset:2504
	s_mul_hi_u32 s4, s0, 0xffffe714
	s_mulk_i32 s1, 0xe714
	s_sub_i32 s4, s4, s0
	s_add_i32 s1, s4, s1
	s_mulk_i32 s0, 0xe714
	v_add_co_u32_e32 v2, vcc, s0, v2
	v_mov_b32_e32 v19, s6
	v_mov_b32_e32 v20, s6
	s_movk_i32 s18, 0x3cab
	v_add_u32_e32 v46, 0x1a00, v139
                                        ; implicit-def: $vgpr188
                                        ; implicit-def: $vgpr187
                                        ; implicit-def: $vgpr186
                                        ; implicit-def: $vgpr122
                                        ; implicit-def: $vgpr116
                                        ; implicit-def: $vgpr123
                                        ; implicit-def: $vgpr191
                                        ; implicit-def: $vgpr190
                                        ; implicit-def: $vgpr59
                                        ; implicit-def: $vgpr189
                                        ; implicit-def: $vgpr192
	s_waitcnt vmcnt(18)
	v_lshrrev_b32_e32 v11, 16, v4
	v_mul_f16_sdwa v12, v175, v4 dst_sel:DWORD dst_unused:UNUSED_PAD src0_sel:WORD_1 src1_sel:DWORD
	v_mul_f16_sdwa v13, v175, v11 dst_sel:DWORD dst_unused:UNUSED_PAD src0_sel:WORD_1 src1_sel:DWORD
	v_fma_f16 v11, v175, v11, -v12
	v_fma_f16 v4, v175, v4, v13
	v_pack_b32_f16 v4, v4, v11
	s_waitcnt vmcnt(17)
	v_lshrrev_b32_e32 v12, 16, v5
	s_waitcnt vmcnt(16)
	v_mul_f16_sdwa v14, v173, v5 dst_sel:DWORD dst_unused:UNUSED_PAD src0_sel:WORD_1 src1_sel:DWORD
	v_mul_f16_sdwa v13, v173, v12 dst_sel:DWORD dst_unused:UNUSED_PAD src0_sel:WORD_1 src1_sel:DWORD
	v_mov_b32_e32 v11, s1
	v_fma_f16 v12, v173, v12, -v14
	v_fma_f16 v5, v173, v5, v13
	v_addc_co_u32_e32 v3, vcc, v3, v11, vcc
	global_load_dword v11, v[2:3], off
	v_pack_b32_f16 v5, v5, v12
	ds_write_b32 v139, v5 offset:1100
	s_waitcnt vmcnt(16)
	v_lshrrev_b32_e32 v5, 16, v6
	s_waitcnt vmcnt(15)
	v_mul_f16_sdwa v12, v172, v5 dst_sel:DWORD dst_unused:UNUSED_PAD src0_sel:WORD_1 src1_sel:DWORD
	v_fma_f16 v12, v172, v6, v12
	v_mul_f16_sdwa v6, v172, v6 dst_sel:DWORD dst_unused:UNUSED_PAD src0_sel:WORD_1 src1_sel:DWORD
	v_fma_f16 v5, v172, v5, -v6
	v_pack_b32_f16 v5, v12, v5
	global_load_dword v153, v139, s[12:13] offset:1760
	global_load_dword v165, v139, s[12:13] offset:2420
	;; [unrolled: 1-line block ×6, first 2 shown]
	ds_write_b32 v139, v5 offset:2200
	s_waitcnt vmcnt(19)
	v_lshrrev_b32_e32 v5, 16, v8
	v_mul_f16_sdwa v6, v170, v5 dst_sel:DWORD dst_unused:UNUSED_PAD src0_sel:WORD_1 src1_sel:DWORD
	v_fma_f16 v6, v170, v8, v6
	v_mul_f16_sdwa v8, v170, v8 dst_sel:DWORD dst_unused:UNUSED_PAD src0_sel:WORD_1 src1_sel:DWORD
	v_fma_f16 v5, v170, v5, -v8
	v_pack_b32_f16 v5, v6, v5
	v_mov_b32_e32 v8, s6
	v_add_co_u32_e32 v2, vcc, s7, v2
	ds_write_b32 v139, v5 offset:3300
	v_addc_co_u32_e32 v3, vcc, v3, v8, vcc
	global_load_dword v162, v[0:1], off offset:1624
	global_load_dword v164, v[0:1], off offset:524
	;; [unrolled: 1-line block ×6, first 2 shown]
	global_load_dword v8, v[2:3], off
	s_waitcnt vmcnt(25)
	v_lshrrev_b32_e32 v5, 16, v9
	s_waitcnt vmcnt(24)
	v_mul_f16_sdwa v6, v169, v5 dst_sel:DWORD dst_unused:UNUSED_PAD src0_sel:WORD_1 src1_sel:DWORD
	v_fma_f16 v6, v169, v9, v6
	v_mul_f16_sdwa v9, v169, v9 dst_sel:DWORD dst_unused:UNUSED_PAD src0_sel:WORD_1 src1_sel:DWORD
	v_fma_f16 v5, v169, v5, -v9
	v_pack_b32_f16 v5, v6, v5
	ds_write_b32 v139, v5 offset:4400
	s_waitcnt vmcnt(23)
	v_lshrrev_b32_e32 v5, 16, v7
	s_waitcnt vmcnt(22)
	v_mul_f16_sdwa v6, v168, v5 dst_sel:DWORD dst_unused:UNUSED_PAD src0_sel:WORD_1 src1_sel:DWORD
	v_fma_f16 v6, v168, v7, v6
	v_mul_f16_sdwa v7, v168, v7 dst_sel:DWORD dst_unused:UNUSED_PAD src0_sel:WORD_1 src1_sel:DWORD
	v_fma_f16 v5, v168, v5, -v7
	v_mov_b32_e32 v9, s6
	v_add_co_u32_e32 v2, vcc, s7, v2
	v_pack_b32_f16 v5, v6, v5
	v_addc_co_u32_e32 v3, vcc, v3, v9, vcc
	ds_write_b32 v139, v5 offset:5500
	s_waitcnt vmcnt(19)
	v_lshrrev_b32_e32 v5, 16, v10
	global_load_dword v9, v[2:3], off
	global_load_dword v155, v[0:1], off offset:1844
	global_load_dword v148, v[0:1], off offset:2064
	;; [unrolled: 1-line block ×7, first 2 shown]
	s_waitcnt vmcnt(22)
	v_mul_f16_sdwa v0, v171, v5 dst_sel:DWORD dst_unused:UNUSED_PAD src0_sel:WORD_1 src1_sel:DWORD
	v_mul_f16_sdwa v1, v171, v10 dst_sel:DWORD dst_unused:UNUSED_PAD src0_sel:WORD_1 src1_sel:DWORD
	v_fma_f16 v0, v171, v10, v0
	v_fma_f16 v1, v171, v5, -v1
	v_pack_b32_f16 v0, v0, v1
	ds_write_b32 v139, v0 offset:6600
	v_mov_b32_e32 v1, s6
	v_add_co_u32_e32 v0, vcc, s7, v2
	v_addc_co_u32_e32 v1, vcc, v3, v1, vcc
	global_load_dword v2, v[0:1], off
	global_load_dword v167, v139, s[12:13] offset:3520
	v_add_co_u32_e32 v70, vcc, 55, v174
	v_addc_co_u32_e64 v73, s[4:5], 0, 0, vcc
	v_mov_b32_e32 v6, s6
	v_add_co_u32_e32 v0, vcc, s7, v0
	v_addc_co_u32_e32 v1, vcc, v1, v6, vcc
	global_load_dword v6, v[0:1], off
	v_mov_b32_e32 v7, s6
	v_add_co_u32_e32 v0, vcc, s7, v0
	v_addc_co_u32_e32 v1, vcc, v1, v7, vcc
	global_load_dword v7, v[0:1], off
	v_mov_b32_e32 v10, s6
	v_add_co_u32_e32 v0, vcc, s7, v0
	v_addc_co_u32_e32 v1, vcc, v1, v10, vcc
	s_waitcnt vmcnt(25)
	v_lshrrev_b32_e32 v3, 16, v11
	v_mul_f16_sdwa v5, v166, v3 dst_sel:DWORD dst_unused:UNUSED_PAD src0_sel:WORD_1 src1_sel:DWORD
	global_load_dword v10, v[0:1], off
	v_fma_f16 v5, v166, v11, v5
	v_mul_f16_sdwa v11, v166, v11 dst_sel:DWORD dst_unused:UNUSED_PAD src0_sel:WORD_1 src1_sel:DWORD
	v_fma_f16 v3, v166, v3, -v11
	v_mov_b32_e32 v11, s1
	v_add_co_u32_e32 v0, vcc, s0, v0
	v_addc_co_u32_e32 v1, vcc, v1, v11, vcc
	global_load_dword v11, v[0:1], off
	v_mov_b32_e32 v12, s6
	v_add_co_u32_e32 v0, vcc, s7, v0
	v_addc_co_u32_e32 v1, vcc, v1, v12, vcc
	global_load_dword v12, v[0:1], off
	v_pack_b32_f16 v3, v5, v3
	ds_write2_b32 v139, v4, v3 offset1:55
	v_add_co_u32_e32 v0, vcc, s7, v0
	v_mov_b32_e32 v13, s6
	v_mov_b32_e32 v14, s6
	s_waitcnt vmcnt(15)
	v_lshrrev_b32_e32 v3, 16, v8
	v_mul_f16_sdwa v4, v163, v3 dst_sel:DWORD dst_unused:UNUSED_PAD src0_sel:WORD_1 src1_sel:DWORD
	v_mul_f16_sdwa v5, v163, v8 dst_sel:DWORD dst_unused:UNUSED_PAD src0_sel:WORD_1 src1_sel:DWORD
	v_fma_f16 v4, v163, v8, v4
	v_fma_f16 v3, v163, v3, -v5
	v_pack_b32_f16 v4, v4, v3
	v_mov_b32_e32 v3, s6
	v_addc_co_u32_e32 v1, vcc, v1, v3, vcc
	global_load_dword v8, v[0:1], off
	v_add_co_u32_e32 v0, vcc, s7, v0
	v_addc_co_u32_e32 v1, vcc, v1, v13, vcc
	global_load_dword v13, v[0:1], off
	global_load_dword v160, v139, s[12:13] offset:3740
	v_add_co_u32_e32 v0, vcc, s7, v0
	v_addc_co_u32_e32 v1, vcc, v1, v14, vcc
	global_load_dword v14, v[0:1], off
	v_add_co_u32_e32 v0, vcc, s7, v0
	s_waitcnt vmcnt(18)
	v_lshrrev_b32_e32 v3, 16, v9
	v_mul_f16_sdwa v5, v165, v3 dst_sel:DWORD dst_unused:UNUSED_PAD src0_sel:WORD_1 src1_sel:DWORD
	v_fma_f16 v5, v165, v9, v5
	v_mul_f16_sdwa v9, v165, v9 dst_sel:DWORD dst_unused:UNUSED_PAD src0_sel:WORD_1 src1_sel:DWORD
	v_fma_f16 v3, v165, v3, -v9
	v_mov_b32_e32 v9, s6
	v_pack_b32_f16 v15, v5, v3
	v_addc_co_u32_e32 v1, vcc, v1, v9, vcc
	global_load_dword v9, v[0:1], off
	v_add_co_u32_e32 v0, vcc, s7, v0
	s_waitcnt vmcnt(11)
	v_lshrrev_b32_e32 v3, 16, v2
	s_waitcnt vmcnt(10)
	v_mul_f16_sdwa v5, v167, v3 dst_sel:DWORD dst_unused:UNUSED_PAD src0_sel:WORD_1 src1_sel:DWORD
	v_fma_f16 v5, v167, v2, v5
	v_mul_f16_sdwa v2, v167, v2 dst_sel:DWORD dst_unused:UNUSED_PAD src0_sel:WORD_1 src1_sel:DWORD
	v_fma_f16 v2, v167, v3, -v2
	v_pack_b32_f16 v16, v5, v2
	v_mov_b32_e32 v2, s6
	v_addc_co_u32_e32 v1, vcc, v1, v2, vcc
	global_load_dword v17, v[0:1], off
	s_waitcnt vmcnt(10)
	v_lshrrev_b32_e32 v2, 16, v6
	v_mul_f16_sdwa v3, v164, v2 dst_sel:DWORD dst_unused:UNUSED_PAD src0_sel:WORD_1 src1_sel:DWORD
	v_mul_f16_sdwa v5, v164, v6 dst_sel:DWORD dst_unused:UNUSED_PAD src0_sel:WORD_1 src1_sel:DWORD
	v_fma_f16 v3, v164, v6, v3
	v_fma_f16 v2, v164, v2, -v5
	v_pack_b32_f16 v6, v3, v2
	s_waitcnt vmcnt(9)
	v_lshrrev_b32_e32 v2, 16, v7
	v_mul_f16_sdwa v3, v162, v2 dst_sel:DWORD dst_unused:UNUSED_PAD src0_sel:WORD_1 src1_sel:DWORD
	v_mul_f16_sdwa v5, v162, v7 dst_sel:DWORD dst_unused:UNUSED_PAD src0_sel:WORD_1 src1_sel:DWORD
	v_fma_f16 v3, v162, v7, v3
	v_fma_f16 v2, v162, v2, -v5
	v_pack_b32_f16 v18, v3, v2
	s_movk_i32 s4, 0x6e
	v_add_co_u32_e32 v71, vcc, s4, v174
	s_waitcnt vmcnt(8)
	v_lshrrev_b32_e32 v2, 16, v10
	v_mul_f16_sdwa v3, v161, v2 dst_sel:DWORD dst_unused:UNUSED_PAD src0_sel:WORD_1 src1_sel:DWORD
	v_mul_f16_sdwa v5, v161, v10 dst_sel:DWORD dst_unused:UNUSED_PAD src0_sel:WORD_1 src1_sel:DWORD
	v_fma_f16 v3, v161, v10, v3
	v_fma_f16 v2, v161, v2, -v5
	v_pack_b32_f16 v10, v3, v2
	s_movk_i32 s4, 0xa5
	global_load_dword v151, v139, s[12:13] offset:3960
	s_waitcnt vmcnt(8)
	v_lshrrev_b32_e32 v2, 16, v11
	v_mul_f16_sdwa v3, v159, v2 dst_sel:DWORD dst_unused:UNUSED_PAD src0_sel:WORD_1 src1_sel:DWORD
	v_mul_f16_sdwa v5, v159, v11 dst_sel:DWORD dst_unused:UNUSED_PAD src0_sel:WORD_1 src1_sel:DWORD
	v_fma_f16 v3, v159, v11, v3
	v_fma_f16 v2, v159, v2, -v5
	v_pack_b32_f16 v11, v3, v2
	s_waitcnt vmcnt(7)
	v_lshrrev_b32_e32 v2, 16, v12
	v_mul_f16_sdwa v3, v157, v2 dst_sel:DWORD dst_unused:UNUSED_PAD src0_sel:WORD_1 src1_sel:DWORD
	v_mul_f16_sdwa v5, v157, v12 dst_sel:DWORD dst_unused:UNUSED_PAD src0_sel:WORD_1 src1_sel:DWORD
	v_fma_f16 v3, v157, v12, v3
	v_fma_f16 v2, v157, v2, -v5
	v_pack_b32_f16 v2, v3, v2
	v_add_u32_e32 v3, 0x400, v139
	ds_write2_b32 v3, v4, v2 offset0:74 offset1:129
	v_mov_b32_e32 v2, s1
	v_add_co_u32_e32 v4, vcc, s0, v0
	v_addc_co_u32_e32 v5, vcc, v1, v2, vcc
	global_load_dword v12, v[4:5], off
	v_add_co_u32_e32 v4, vcc, s7, v4
	s_waitcnt vmcnt(7)
	v_lshrrev_b32_e32 v0, 16, v8
	v_mul_f16_sdwa v1, v158, v0 dst_sel:DWORD dst_unused:UNUSED_PAD src0_sel:WORD_1 src1_sel:DWORD
	v_mul_f16_sdwa v2, v158, v8 dst_sel:DWORD dst_unused:UNUSED_PAD src0_sel:WORD_1 src1_sel:DWORD
	v_fma_f16 v1, v158, v8, v1
	v_fma_f16 v0, v158, v0, -v2
	v_pack_b32_f16 v1, v1, v0
	v_add_u32_e32 v0, 0x800, v139
	ds_write2_b32 v0, v15, v1 offset0:93 offset1:148
	s_waitcnt vmcnt(6)
	v_lshrrev_b32_e32 v1, 16, v13
	s_waitcnt vmcnt(5)
	v_mul_f16_sdwa v2, v160, v1 dst_sel:DWORD dst_unused:UNUSED_PAD src0_sel:WORD_1 src1_sel:DWORD
	v_mul_f16_sdwa v7, v160, v13 dst_sel:DWORD dst_unused:UNUSED_PAD src0_sel:WORD_1 src1_sel:DWORD
	v_fma_f16 v2, v160, v13, v2
	v_fma_f16 v1, v160, v1, -v7
	v_pack_b32_f16 v1, v2, v1
	v_add_u32_e32 v2, 0xc00, v139
	ds_write2_b32 v2, v16, v1 offset0:112 offset1:167
	s_waitcnt vmcnt(4)
	v_lshrrev_b32_e32 v1, 16, v14
	v_mul_f16_sdwa v7, v156, v1 dst_sel:DWORD dst_unused:UNUSED_PAD src0_sel:WORD_1 src1_sel:DWORD
	v_mul_f16_sdwa v8, v156, v14 dst_sel:DWORD dst_unused:UNUSED_PAD src0_sel:WORD_1 src1_sel:DWORD
	v_fma_f16 v7, v156, v14, v7
	v_fma_f16 v1, v156, v1, -v8
	v_pack_b32_f16 v1, v7, v1
	ds_write2_b32 v29, v6, v1 offset0:131 offset1:186
	v_mov_b32_e32 v6, s6
	v_addc_co_u32_e32 v5, vcc, v5, v6, vcc
	global_load_dword v6, v[4:5], off
	s_waitcnt vmcnt(4)
	v_lshrrev_b32_e32 v1, 16, v9
	v_mul_f16_sdwa v7, v155, v1 dst_sel:DWORD dst_unused:UNUSED_PAD src0_sel:WORD_1 src1_sel:DWORD
	v_mul_f16_sdwa v8, v155, v9 dst_sel:DWORD dst_unused:UNUSED_PAD src0_sel:WORD_1 src1_sel:DWORD
	v_fma_f16 v7, v155, v9, v7
	v_fma_f16 v1, v155, v1, -v8
	v_pack_b32_f16 v1, v7, v1
	v_add_u32_e32 v7, 0x1400, v139
	ds_write2_b32 v7, v18, v1 offset0:150 offset1:205
	s_waitcnt vmcnt(3)
	v_lshrrev_b32_e32 v1, 16, v17
	v_mul_f16_sdwa v8, v154, v1 dst_sel:DWORD dst_unused:UNUSED_PAD src0_sel:WORD_1 src1_sel:DWORD
	v_mul_f16_sdwa v9, v154, v17 dst_sel:DWORD dst_unused:UNUSED_PAD src0_sel:WORD_1 src1_sel:DWORD
	v_fma_f16 v8, v154, v17, v8
	v_fma_f16 v1, v154, v1, -v9
	v_pack_b32_f16 v8, v8, v1
	v_add_u32_e32 v1, 0x1800, v139
	v_add_co_u32_e32 v72, vcc, s4, v174
	ds_write2_b32 v1, v10, v8 offset0:169 offset1:224
	v_mov_b32_e32 v8, s6
	v_add_co_u32_e32 v4, vcc, s7, v4
	v_addc_co_u32_e32 v5, vcc, v5, v8, vcc
	global_load_dword v8, v[4:5], off
	v_mov_b32_e32 v9, s6
	v_add_co_u32_e32 v4, vcc, s7, v4
	v_addc_co_u32_e32 v5, vcc, v5, v9, vcc
	global_load_dword v9, v[4:5], off
	;; [unrolled: 4-line block ×6, first 2 shown]
	v_mov_b32_e32 v18, s6
	v_add_co_u32_e32 v4, vcc, s7, v4
	s_waitcnt vmcnt(7)
	v_lshrrev_b32_e32 v15, 16, v12
	v_addc_co_u32_e32 v5, vcc, v5, v18, vcc
	v_mul_f16_sdwa v16, v152, v15 dst_sel:DWORD dst_unused:UNUSED_PAD src0_sel:WORD_1 src1_sel:DWORD
	global_load_dword v18, v[4:5], off
	v_fma_f16 v16, v152, v12, v16
	v_mul_f16_sdwa v12, v152, v12 dst_sel:DWORD dst_unused:UNUSED_PAD src0_sel:WORD_1 src1_sel:DWORD
	v_fma_f16 v12, v152, v15, -v12
	v_mov_b32_e32 v15, s6
	v_add_co_u32_e32 v4, vcc, s7, v4
	v_addc_co_u32_e32 v5, vcc, v5, v15, vcc
	global_load_dword v15, v[4:5], off
	v_pack_b32_f16 v12, v16, v12
	ds_write2_b32 v139, v11, v12 offset0:110 offset1:165
	v_mov_b32_e32 v11, s6
	v_add_co_u32_e32 v4, vcc, s7, v4
	v_addc_co_u32_e32 v5, vcc, v5, v11, vcc
	global_load_dword v11, v[4:5], off
	v_add_co_u32_e32 v4, vcc, s7, v4
	v_addc_co_u32_e32 v5, vcc, v5, v19, vcc
	global_load_dword v19, v[4:5], off
	v_add_co_u32_e32 v4, vcc, s7, v4
	s_waitcnt vmcnt(10)
	v_lshrrev_b32_e32 v12, 16, v6
	v_addc_co_u32_e32 v5, vcc, v5, v20, vcc
	v_mul_f16_sdwa v16, v153, v12 dst_sel:DWORD dst_unused:UNUSED_PAD src0_sel:WORD_1 src1_sel:DWORD
	global_load_dword v20, v[4:5], off
	v_fma_f16 v16, v153, v6, v16
	v_mul_f16_sdwa v6, v153, v6 dst_sel:DWORD dst_unused:UNUSED_PAD src0_sel:WORD_1 src1_sel:DWORD
	v_fma_f16 v6, v153, v12, -v6
	v_mov_b32_e32 v12, s6
	v_add_co_u32_e32 v4, vcc, s7, v4
	v_addc_co_u32_e32 v5, vcc, v5, v12, vcc
	global_load_dword v4, v[4:5], off
	v_pack_b32_f16 v5, v16, v6
	s_movk_i32 s7, 0x3a52
	s_movk_i32 s0, 0xdc
	s_waitcnt vmcnt(11)
	v_lshrrev_b32_e32 v6, 16, v8
	v_mul_f16_sdwa v12, v150, v6 dst_sel:DWORD dst_unused:UNUSED_PAD src0_sel:WORD_1 src1_sel:DWORD
	v_fma_f16 v12, v150, v8, v12
	v_mul_f16_sdwa v8, v150, v8 dst_sel:DWORD dst_unused:UNUSED_PAD src0_sel:WORD_1 src1_sel:DWORD
	v_fma_f16 v6, v150, v6, -v8
	v_pack_b32_f16 v6, v12, v6
	s_waitcnt vmcnt(10)
	v_lshrrev_b32_e32 v8, 16, v9
	v_mul_f16_sdwa v12, v151, v8 dst_sel:DWORD dst_unused:UNUSED_PAD src0_sel:WORD_1 src1_sel:DWORD
	v_fma_f16 v12, v151, v9, v12
	v_mul_f16_sdwa v9, v151, v9 dst_sel:DWORD dst_unused:UNUSED_PAD src0_sel:WORD_1 src1_sel:DWORD
	v_fma_f16 v8, v151, v8, -v9
	v_pack_b32_f16 v8, v12, v8
	;; [unrolled: 7-line block ×5, first 2 shown]
	s_waitcnt vmcnt(6)
	v_lshrrev_b32_e32 v13, 16, v17
	v_mul_f16_sdwa v14, v146, v13 dst_sel:DWORD dst_unused:UNUSED_PAD src0_sel:WORD_1 src1_sel:DWORD
	v_mul_f16_sdwa v16, v146, v17 dst_sel:DWORD dst_unused:UNUSED_PAD src0_sel:WORD_1 src1_sel:DWORD
	v_fma_f16 v14, v146, v17, v14
	v_fma_f16 v13, v146, v13, -v16
	v_pack_b32_f16 v13, v14, v13
	ds_write_b32 v139, v13 offset:880
	s_movk_i32 s1, 0x2b26
	s_waitcnt vmcnt(5)
	v_lshrrev_b32_e32 v13, 16, v18
	v_mul_f16_sdwa v14, v145, v13 dst_sel:DWORD dst_unused:UNUSED_PAD src0_sel:WORD_1 src1_sel:DWORD
	v_mul_f16_sdwa v16, v145, v18 dst_sel:DWORD dst_unused:UNUSED_PAD src0_sel:WORD_1 src1_sel:DWORD
	v_fma_f16 v14, v145, v18, v14
	v_fma_f16 v13, v145, v13, -v16
	v_pack_b32_f16 v13, v14, v13
	ds_write2_b32 v3, v5, v13 offset0:184 offset1:239
	s_mov_b32 s5, 0xb846
	v_add_co_u32_e32 v76, vcc, s0, v174
	s_waitcnt vmcnt(4)
	v_lshrrev_b32_e32 v5, 16, v15
	v_mul_f16_sdwa v13, v144, v5 dst_sel:DWORD dst_unused:UNUSED_PAD src0_sel:WORD_1 src1_sel:DWORD
	v_mul_f16_sdwa v14, v144, v15 dst_sel:DWORD dst_unused:UNUSED_PAD src0_sel:WORD_1 src1_sel:DWORD
	v_fma_f16 v13, v144, v15, v13
	v_fma_f16 v5, v144, v5, -v14
	v_pack_b32_f16 v5, v13, v5
	v_add_u32_e32 v13, 0xa00, v139
	ds_write2_b32 v13, v6, v5 offset0:75 offset1:130
	s_waitcnt vmcnt(3)
	v_lshrrev_b32_e32 v5, 16, v11
	v_mul_f16_sdwa v6, v143, v5 dst_sel:DWORD dst_unused:UNUSED_PAD src0_sel:WORD_1 src1_sel:DWORD
	v_fma_f16 v6, v143, v11, v6
	v_mul_f16_sdwa v11, v143, v11 dst_sel:DWORD dst_unused:UNUSED_PAD src0_sel:WORD_1 src1_sel:DWORD
	v_fma_f16 v5, v143, v5, -v11
	v_pack_b32_f16 v5, v6, v5
	v_add_u32_e32 v6, 0xe00, v139
	ds_write2_b32 v6, v8, v5 offset0:94 offset1:149
	s_waitcnt vmcnt(2)
	v_lshrrev_b32_e32 v5, 16, v19
	v_mul_f16_sdwa v8, v142, v5 dst_sel:DWORD dst_unused:UNUSED_PAD src0_sel:WORD_1 src1_sel:DWORD
	v_mul_f16_sdwa v11, v142, v19 dst_sel:DWORD dst_unused:UNUSED_PAD src0_sel:WORD_1 src1_sel:DWORD
	v_fma_f16 v8, v142, v19, v8
	v_fma_f16 v5, v142, v5, -v11
	v_pack_b32_f16 v5, v8, v5
	v_add_u32_e32 v8, 0x1200, v139
	ds_write2_b32 v8, v9, v5 offset0:113 offset1:168
	s_waitcnt vmcnt(1)
	v_lshrrev_b32_e32 v5, 16, v20
	v_mul_f16_sdwa v9, v141, v5 dst_sel:DWORD dst_unused:UNUSED_PAD src0_sel:WORD_1 src1_sel:DWORD
	v_mul_f16_sdwa v11, v141, v20 dst_sel:DWORD dst_unused:UNUSED_PAD src0_sel:WORD_1 src1_sel:DWORD
	v_fma_f16 v9, v141, v20, v9
	v_fma_f16 v5, v141, v5, -v11
	v_pack_b32_f16 v5, v9, v5
	ds_write2_b32 v1, v10, v5 offset0:4 offset1:59
	s_waitcnt vmcnt(0)
	v_lshrrev_b32_e32 v5, 16, v4
	v_mul_f16_sdwa v9, v140, v5 dst_sel:DWORD dst_unused:UNUSED_PAD src0_sel:WORD_1 src1_sel:DWORD
	v_fma_f16 v9, v140, v4, v9
	v_mul_f16_sdwa v4, v140, v4 dst_sel:DWORD dst_unused:UNUSED_PAD src0_sel:WORD_1 src1_sel:DWORD
	v_fma_f16 v4, v140, v5, -v4
	v_pack_b32_f16 v4, v9, v4
	v_add_u32_e32 v5, 0x1c00, v139
	ds_write2_b32 v5, v12, v4 offset0:23 offset1:78
	v_mul_lo_u16_e32 v4, 7, v174
	s_waitcnt lgkmcnt(0)
	; wave barrier
	s_waitcnt lgkmcnt(0)
	v_lshlrev_b32_e32 v107, 2, v4
	ds_read2_b32 v[4:5], v3 offset0:74 offset1:129
	ds_read2_b32 v[10:11], v0 offset0:38 offset1:93
	ds_read2_b32 v[12:13], v2 offset0:112 offset1:167
	ds_read2_b32 v[14:15], v1 offset0:114 offset1:169
	ds_read2_b32 v[16:17], v7 offset0:150 offset1:205
	ds_read2_b32 v[18:19], v29 offset0:76 offset1:131
	ds_read2_b32 v[20:21], v139 offset1:55
	v_mul_u32_u24_e32 v9, 7, v70
	v_lshlrev_b32_e32 v108, 2, v9
	s_waitcnt lgkmcnt(3)
	v_pk_add_f16 v9, v4, v15
	s_waitcnt lgkmcnt(2)
	v_pk_add_f16 v22, v11, v16
	;; [unrolled: 2-line block ×3, first 2 shown]
	v_pk_add_f16 v24, v22, v9
	v_pk_add_f16 v24, v23, v24
	v_pk_add_f16 v4, v4, v15 neg_lo:[0,1] neg_hi:[0,1]
	v_pk_add_f16 v11, v11, v16 neg_lo:[0,1] neg_hi:[0,1]
	s_waitcnt lgkmcnt(0)
	v_pk_add_f16 v30, v21, v24
	v_pk_add_f16 v12, v19, v12 neg_lo:[0,1] neg_hi:[0,1]
	v_pk_add_f16 v15, v22, v9 neg_lo:[0,1] neg_hi:[0,1]
	;; [unrolled: 1-line block ×4, first 2 shown]
	v_pk_add_f16 v16, v12, v11
	v_pk_mul_f16 v9, v9, s7 op_sel_hi:[1,0]
	v_pk_mul_f16 v15, v15, s16 op_sel_hi:[1,0]
	;; [unrolled: 1-line block ×3, first 2 shown]
	v_pk_add_f16 v22, v23, v22 neg_lo:[0,1] neg_hi:[0,1]
	v_pk_add_f16 v11, v12, v11 neg_lo:[0,1] neg_hi:[0,1]
	;; [unrolled: 1-line block ×3, first 2 shown]
	v_pk_add_f16 v4, v16, v4
	s_movk_i32 s6, 0x3574
	v_pk_fma_f16 v24, v24, s18, v30 op_sel_hi:[1,0,1] neg_lo:[1,0,0] neg_hi:[1,0,0]
	v_pk_add_f16 v25, v9, v15 op_sel:[1,1] op_sel_hi:[0,0] neg_lo:[1,1] neg_hi:[1,1]
	s_movk_i32 s0, 0x370e
	v_pk_fma_f16 v12, v22, s1, v15 op_sel_hi:[1,0,1] neg_lo:[1,0,0] neg_hi:[1,0,0]
	v_pk_fma_f16 v15, v11, s5, v21 op_sel_hi:[1,0,1] neg_lo:[1,0,0] neg_hi:[1,0,0]
	v_pk_mul_f16 v16, v19, s6 op_sel_hi:[1,0]
	v_pk_add_f16 v12, v12, v24
	v_pk_fma_f16 v15, v4, s0, v15 op_sel_hi:[1,0,1]
	v_pk_fma_f16 v19, v19, s6, v21 op_sel_hi:[1,0,1] neg_lo:[1,0,1] neg_hi:[1,0,1]
	v_pk_add_f16 v21, v12, v15 op_sel:[0,1] op_sel_hi:[1,0] neg_lo:[0,1] neg_hi:[0,1]
	v_pk_add_f16 v12, v12, v15 op_sel:[0,1] op_sel_hi:[1,0]
	s_mov_b32 s4, 0xffff
	v_pk_fma_f16 v11, v11, s5, v16 op_sel_hi:[1,0,1]
	v_pk_fma_f16 v19, v4, s0, v19 op_sel_hi:[1,0,1]
	v_bfi_b32 v32, s4, v21, v12
	v_bfi_b32 v33, s4, v12, v21
	v_pk_fma_f16 v9, v22, s1, v9 op_sel_hi:[1,0,1]
	v_pk_fma_f16 v4, v4, s0, v11 op_sel_hi:[1,0,1]
	ds_read2_b32 v[11:12], v46 offset0:96 offset1:151
	ds_read2_b32 v[15:16], v0 offset0:148 offset1:203
	;; [unrolled: 1-line block ×3, first 2 shown]
	v_pk_add_f16 v25, v25, v24 op_sel:[0,1] op_sel_hi:[1,0]
	v_pk_add_f16 v9, v9, v24
	ds_read2_b32 v[23:24], v139 offset0:110 offset1:165
	v_pk_add_f16 v34, v9, v4 op_sel:[0,1] op_sel_hi:[1,0]
	v_pk_add_f16 v35, v9, v4 op_sel:[0,1] op_sel_hi:[1,0] neg_lo:[0,1] neg_hi:[0,1]
	v_mul_u32_u24_e32 v4, 7, v71
	v_pk_add_f16 v26, v25, v19
	v_pk_add_f16 v19, v25, v19 neg_lo:[0,1] neg_hi:[0,1]
	v_lshlrev_b32_e32 v109, 2, v4
	s_waitcnt lgkmcnt(3)
	v_pk_add_f16 v4, v5, v11
	s_waitcnt lgkmcnt(2)
	v_pk_add_f16 v9, v15, v17
	v_alignbit_b32 v31, v19, v26, 16
	v_alignbit_b32 v19, v26, v19, 16
	s_waitcnt lgkmcnt(1)
	v_pk_add_f16 v25, v13, v21
	v_pk_add_f16 v26, v9, v4
	v_pk_add_f16 v5, v5, v11 neg_lo:[0,1] neg_hi:[0,1]
	v_pk_add_f16 v11, v15, v17 neg_lo:[0,1] neg_hi:[0,1]
	v_pk_add_f16 v26, v25, v26
	v_pk_add_f16 v13, v21, v13 neg_lo:[0,1] neg_hi:[0,1]
	v_pk_add_f16 v15, v9, v4 neg_lo:[0,1] neg_hi:[0,1]
	;; [unrolled: 1-line block ×4, first 2 shown]
	s_waitcnt lgkmcnt(0)
	v_pk_add_f16 v23, v23, v26
	v_pk_add_f16 v17, v13, v11
	v_pk_add_f16 v21, v5, v13 neg_lo:[0,1] neg_hi:[0,1]
	v_pk_mul_f16 v4, v4, s7 op_sel_hi:[1,0]
	v_pk_mul_f16 v15, v15, s16 op_sel_hi:[1,0]
	;; [unrolled: 1-line block ×3, first 2 shown]
	v_pk_add_f16 v9, v25, v9 neg_lo:[0,1] neg_hi:[0,1]
	v_pk_add_f16 v11, v13, v11 neg_lo:[0,1] neg_hi:[0,1]
	v_pk_add_f16 v5, v17, v5
	v_pk_mul_f16 v17, v21, s6 op_sel_hi:[1,0]
	v_pk_fma_f16 v26, v26, s18, v23 op_sel_hi:[1,0,1] neg_lo:[1,0,0] neg_hi:[1,0,0]
	v_pk_add_f16 v28, v4, v15 op_sel:[1,1] op_sel_hi:[0,0] neg_lo:[1,1] neg_hi:[1,1]
	v_pk_fma_f16 v13, v9, s1, v15 op_sel_hi:[1,0,1] neg_lo:[1,0,0] neg_hi:[1,0,0]
	v_pk_fma_f16 v15, v11, s5, v27 op_sel_hi:[1,0,1] neg_lo:[1,0,0] neg_hi:[1,0,0]
	;; [unrolled: 1-line block ×3, first 2 shown]
	v_pk_add_f16 v13, v13, v26
	v_pk_fma_f16 v15, v5, s0, v15 op_sel_hi:[1,0,1]
	v_pk_fma_f16 v4, v9, s1, v4 op_sel_hi:[1,0,1]
	;; [unrolled: 1-line block ×3, first 2 shown]
	v_pk_add_f16 v28, v28, v26 op_sel:[0,1] op_sel_hi:[1,0]
	v_pk_fma_f16 v21, v5, s0, v21 op_sel_hi:[1,0,1]
	v_pk_add_f16 v25, v13, v15 op_sel:[0,1] op_sel_hi:[1,0] neg_lo:[0,1] neg_hi:[0,1]
	v_pk_add_f16 v13, v13, v15 op_sel:[0,1] op_sel_hi:[1,0]
	v_pk_add_f16 v4, v4, v26
	v_pk_fma_f16 v5, v5, s0, v9 op_sel_hi:[1,0,1]
	v_pk_add_f16 v37, v28, v21
	v_pk_add_f16 v21, v28, v21 neg_lo:[0,1] neg_hi:[0,1]
	v_bfi_b32 v39, s4, v25, v13
	v_bfi_b32 v13, s4, v13, v25
	v_pk_add_f16 v17, v4, v5 op_sel:[0,1] op_sel_hi:[1,0]
	v_pk_add_f16 v40, v4, v5 op_sel:[0,1] op_sel_hi:[1,0] neg_lo:[0,1] neg_hi:[0,1]
	ds_read2_b32 v[4:5], v3 offset0:184 offset1:239
	ds_read2_b32 v[25:26], v1 offset0:4 offset1:59
	;; [unrolled: 1-line block ×3, first 2 shown]
	v_mul_u32_u24_e32 v6, 7, v72
	v_lshlrev_b32_e32 v110, 2, v6
	s_waitcnt lgkmcnt(2)
	v_pk_add_f16 v6, v4, v12
	s_waitcnt lgkmcnt(1)
	v_pk_add_f16 v9, v16, v25
	;; [unrolled: 2-line block ×3, first 2 shown]
	v_pk_add_f16 v15, v9, v6
	v_pk_add_f16 v4, v4, v12 neg_lo:[0,1] neg_hi:[0,1]
	v_pk_add_f16 v12, v16, v25 neg_lo:[0,1] neg_hi:[0,1]
	v_pk_add_f16 v16, v22, v27 neg_lo:[0,1] neg_hi:[0,1]
	v_alignbit_b32 v38, v21, v37, 16
	v_alignbit_b32 v37, v37, v21, 16
	v_pk_add_f16 v15, v11, v15
	v_pk_add_f16 v21, v9, v6 neg_lo:[0,1] neg_hi:[0,1]
	v_pk_add_f16 v6, v6, v11 neg_lo:[0,1] neg_hi:[0,1]
	v_pk_add_f16 v22, v16, v12
	v_pk_add_f16 v25, v4, v16 neg_lo:[0,1] neg_hi:[0,1]
	v_pk_add_f16 v27, v12, v4 neg_lo:[0,1] neg_hi:[0,1]
	v_pk_add_f16 v24, v24, v15
	v_pk_add_f16 v4, v22, v4
	v_pk_mul_f16 v6, v6, s7 op_sel_hi:[1,0]
	v_pk_mul_f16 v21, v21, s16 op_sel_hi:[1,0]
	;; [unrolled: 1-line block ×4, first 2 shown]
	v_pk_add_f16 v9, v11, v9 neg_lo:[0,1] neg_hi:[0,1]
	v_pk_add_f16 v11, v16, v12 neg_lo:[0,1] neg_hi:[0,1]
	v_pk_fma_f16 v15, v15, s18, v24 op_sel_hi:[1,0,1] neg_lo:[1,0,0] neg_hi:[1,0,0]
	v_pk_add_f16 v42, v6, v21 op_sel:[1,1] op_sel_hi:[0,0] neg_lo:[1,1] neg_hi:[1,1]
	v_pk_fma_f16 v25, v25, s6, v27 op_sel_hi:[1,0,1] neg_lo:[1,0,1] neg_hi:[1,0,1]
	v_pk_fma_f16 v12, v9, s1, v21 op_sel_hi:[1,0,1] neg_lo:[1,0,0] neg_hi:[1,0,0]
	;; [unrolled: 1-line block ×3, first 2 shown]
	v_pk_fma_f16 v6, v9, s1, v6 op_sel_hi:[1,0,1]
	v_pk_fma_f16 v9, v11, s5, v22 op_sel_hi:[1,0,1]
	;; [unrolled: 1-line block ×3, first 2 shown]
	v_pk_add_f16 v12, v12, v15
	v_pk_fma_f16 v16, v4, s0, v16 op_sel_hi:[1,0,1]
	v_pk_fma_f16 v4, v4, s0, v9 op_sel_hi:[1,0,1]
	v_mul_u32_u24_e32 v9, 7, v76
	v_pk_add_f16 v21, v12, v16 op_sel:[0,1] op_sel_hi:[1,0] neg_lo:[0,1] neg_hi:[0,1]
	v_pk_add_f16 v12, v12, v16 op_sel:[0,1] op_sel_hi:[1,0]
	v_lshlrev_b32_e32 v111, 2, v9
	v_add_u32_e32 v9, 0x200, v139
	v_pk_add_f16 v42, v42, v15 op_sel:[0,1] op_sel_hi:[1,0]
	v_bfi_b32 v27, s4, v21, v12
	v_bfi_b32 v44, s4, v12, v21
	v_pk_add_f16 v6, v6, v15
	ds_read_b32 v45, v139 offset:7480
	ds_read2_b32 v[11:12], v2 offset0:2 offset1:57
	ds_read2_b32 v[15:16], v7 offset0:40 offset1:95
	;; [unrolled: 1-line block ×3, first 2 shown]
	s_waitcnt lgkmcnt(0)
	; wave barrier
	s_waitcnt lgkmcnt(0)
	v_pk_add_f16 v53, v12, v18
	v_pk_add_f16 v52, v10, v16
	;; [unrolled: 1-line block ×4, first 2 shown]
	v_pk_add_f16 v14, v22, v14 neg_lo:[0,1] neg_hi:[0,1]
	v_pk_add_f16 v10, v10, v16 neg_lo:[0,1] neg_hi:[0,1]
	v_pk_add_f16 v54, v53, v54
	v_pk_add_f16 v12, v18, v12 neg_lo:[0,1] neg_hi:[0,1]
	v_pk_add_f16 v16, v52, v51 neg_lo:[0,1] neg_hi:[0,1]
	;; [unrolled: 1-line block ×4, first 2 shown]
	v_pk_add_f16 v20, v20, v54
	v_pk_add_f16 v22, v12, v10
	v_pk_add_f16 v51, v14, v12 neg_lo:[0,1] neg_hi:[0,1]
	v_pk_mul_f16 v18, v18, s7 op_sel_hi:[1,0]
	v_pk_mul_f16 v16, v16, s16 op_sel_hi:[1,0]
	;; [unrolled: 1-line block ×3, first 2 shown]
	v_pk_add_f16 v52, v53, v52 neg_lo:[0,1] neg_hi:[0,1]
	v_pk_add_f16 v10, v12, v10 neg_lo:[0,1] neg_hi:[0,1]
	v_pk_add_f16 v14, v22, v14
	v_pk_mul_f16 v22, v51, s6 op_sel_hi:[1,0]
	v_pk_fma_f16 v54, v54, s18, v20 op_sel_hi:[1,0,1] neg_lo:[1,0,0] neg_hi:[1,0,0]
	v_pk_add_f16 v56, v18, v16 op_sel:[1,1] op_sel_hi:[0,0] neg_lo:[1,1] neg_hi:[1,1]
	v_pk_fma_f16 v51, v51, s6, v55 op_sel_hi:[1,0,1] neg_lo:[1,0,1] neg_hi:[1,0,1]
	v_pk_fma_f16 v12, v52, s1, v16 op_sel_hi:[1,0,1] neg_lo:[1,0,0] neg_hi:[1,0,0]
	;; [unrolled: 1-line block ×3, first 2 shown]
	v_pk_add_f16 v56, v56, v54 op_sel:[0,1] op_sel_hi:[1,0]
	v_pk_fma_f16 v51, v14, s0, v51 op_sel_hi:[1,0,1]
	v_pk_add_f16 v12, v12, v54
	v_pk_fma_f16 v16, v14, s0, v16 op_sel_hi:[1,0,1]
	v_pk_add_f16 v57, v56, v51
	v_pk_add_f16 v51, v56, v51 neg_lo:[0,1] neg_hi:[0,1]
	v_pk_add_f16 v53, v12, v16 op_sel:[0,1] op_sel_hi:[1,0] neg_lo:[0,1] neg_hi:[0,1]
	v_pk_add_f16 v12, v12, v16 op_sel:[0,1] op_sel_hi:[1,0]
	v_alignbit_b32 v56, v51, v57, 16
	v_bfi_b32 v16, s4, v53, v12
	ds_write2_b32 v107, v56, v16 offset0:2 offset1:3
	v_bfi_b32 v12, s4, v12, v53
	v_alignbit_b32 v16, v57, v51, 16
	ds_write2_b32 v107, v12, v16 offset0:4 offset1:5
	v_pk_fma_f16 v12, v52, s1, v18 op_sel_hi:[1,0,1]
	v_pk_fma_f16 v10, v10, s5, v22 op_sel_hi:[1,0,1]
	v_pk_add_f16 v12, v12, v54
	v_pk_fma_f16 v10, v14, s0, v10 op_sel_hi:[1,0,1]
	v_pk_add_f16 v14, v12, v10 op_sel:[0,1] op_sel_hi:[1,0]
	v_pk_add_f16 v10, v12, v10 op_sel:[0,1] op_sel_hi:[1,0] neg_lo:[0,1] neg_hi:[0,1]
	v_pk_add_f16 v43, v42, v25
	v_pk_add_f16 v25, v42, v25 neg_lo:[0,1] neg_hi:[0,1]
	v_bfi_b32 v12, s4, v10, v14
	v_bfi_b32 v10, s4, v14, v10
	v_alignbit_b32 v42, v25, v43, 16
	v_alignbit_b32 v25, v43, v25, 16
	v_pk_add_f16 v43, v6, v4 op_sel:[0,1] op_sel_hi:[1,0]
	v_pk_add_f16 v4, v6, v4 op_sel:[0,1] op_sel_hi:[1,0] neg_lo:[0,1] neg_hi:[0,1]
	ds_write2_b32 v107, v20, v10 offset1:1
	ds_write_b32 v107, v12 offset:24
	ds_write2_b32 v108, v31, v32 offset0:2 offset1:3
	ds_write2_b32 v108, v33, v19 offset0:4 offset1:5
	v_bfi_b32 v10, s4, v34, v35
	v_bfi_b32 v36, s4, v35, v34
	;; [unrolled: 1-line block ×3, first 2 shown]
	v_pk_add_f16 v47, v5, v45
	v_pk_add_f16 v48, v11, v26
	ds_write2_b32 v108, v30, v10 offset1:1
	ds_write_b32 v108, v36 offset:24
	ds_write2_b32 v109, v38, v39 offset0:2 offset1:3
	ds_write2_b32 v109, v13, v37 offset0:4 offset1:5
	v_bfi_b32 v10, s4, v17, v40
	v_bfi_b32 v4, s4, v43, v4
	;; [unrolled: 1-line block ×3, first 2 shown]
	v_pk_add_f16 v49, v28, v15
	v_pk_add_f16 v50, v48, v47
	ds_write2_b32 v109, v23, v10 offset1:1
	ds_write_b32 v109, v41 offset:24
	ds_write2_b32 v110, v42, v27 offset0:2 offset1:3
	ds_write2_b32 v110, v44, v25 offset0:4 offset1:5
	ds_write2_b32 v110, v24, v4 offset1:1
	ds_write_b32 v110, v6 offset:24
	v_pk_add_f16 v4, v5, v45 neg_lo:[0,1] neg_hi:[0,1]
	v_pk_add_f16 v5, v11, v26 neg_lo:[0,1] neg_hi:[0,1]
	v_pk_add_f16 v50, v49, v50
	v_pk_add_f16 v6, v15, v28 neg_lo:[0,1] neg_hi:[0,1]
	v_pk_add_f16 v10, v48, v47 neg_lo:[0,1] neg_hi:[0,1]
	;; [unrolled: 1-line block ×4, first 2 shown]
	v_pk_add_f16 v21, v21, v50
	v_pk_add_f16 v12, v6, v5
	v_pk_add_f16 v13, v4, v6 neg_lo:[0,1] neg_hi:[0,1]
	v_pk_mul_f16 v11, v11, s7 op_sel_hi:[1,0]
	v_pk_mul_f16 v10, v10, s16 op_sel_hi:[1,0]
	;; [unrolled: 1-line block ×3, first 2 shown]
	v_pk_add_f16 v17, v49, v48 neg_lo:[0,1] neg_hi:[0,1]
	v_pk_add_f16 v5, v6, v5 neg_lo:[0,1] neg_hi:[0,1]
	v_pk_add_f16 v4, v12, v4
	v_pk_mul_f16 v12, v13, s6 op_sel_hi:[1,0]
	v_pk_fma_f16 v15, v50, s18, v21 op_sel_hi:[1,0,1] neg_lo:[1,0,0] neg_hi:[1,0,0]
	v_pk_add_f16 v16, v11, v10 op_sel:[1,1] op_sel_hi:[0,0] neg_lo:[1,1] neg_hi:[1,1]
	v_pk_fma_f16 v13, v13, s6, v14 op_sel_hi:[1,0,1] neg_lo:[1,0,1] neg_hi:[1,0,1]
	v_pk_fma_f16 v6, v17, s1, v10 op_sel_hi:[1,0,1] neg_lo:[1,0,0] neg_hi:[1,0,0]
	;; [unrolled: 1-line block ×3, first 2 shown]
	v_pk_add_f16 v16, v16, v15 op_sel:[0,1] op_sel_hi:[1,0]
	v_pk_fma_f16 v13, v4, s0, v13 op_sel_hi:[1,0,1]
	v_pk_add_f16 v6, v6, v15
	v_pk_fma_f16 v10, v4, s0, v10 op_sel_hi:[1,0,1]
	v_pk_add_f16 v74, v16, v13
	v_pk_add_f16 v13, v16, v13 neg_lo:[0,1] neg_hi:[0,1]
	v_pk_add_f16 v14, v6, v10 op_sel:[0,1] op_sel_hi:[1,0] neg_lo:[0,1] neg_hi:[0,1]
	v_pk_add_f16 v6, v6, v10 op_sel:[0,1] op_sel_hi:[1,0]
	v_alignbit_b32 v16, v13, v74, 16
	v_bfi_b32 v10, s4, v14, v6
	ds_write2_b32 v111, v16, v10 offset0:2 offset1:3
	v_bfi_b32 v6, s4, v6, v14
	v_alignbit_b32 v10, v74, v13, 16
	ds_write2_b32 v111, v6, v10 offset0:4 offset1:5
	v_pk_fma_f16 v6, v17, s1, v11 op_sel_hi:[1,0,1]
	v_pk_fma_f16 v5, v5, s5, v12 op_sel_hi:[1,0,1]
	v_pk_add_f16 v6, v6, v15
	v_pk_fma_f16 v4, v4, s0, v5 op_sel_hi:[1,0,1]
	v_pk_add_f16 v10, v6, v4 op_sel:[0,1] op_sel_hi:[1,0]
	v_pk_add_f16 v33, v6, v4 op_sel:[0,1] op_sel_hi:[1,0] neg_lo:[0,1] neg_hi:[0,1]
	v_bfi_b32 v5, s4, v10, v33
	v_bfi_b32 v4, s4, v33, v10
	ds_write2_b32 v111, v21, v5 offset1:1
	ds_write_b32 v111, v4 offset:24
	s_waitcnt lgkmcnt(0)
	; wave barrier
	s_waitcnt lgkmcnt(0)
	ds_read2_b32 v[36:37], v139 offset1:55
	ds_read2_b32 v[34:35], v139 offset0:110 offset1:175
	ds_read2_b32 v[5:6], v3 offset0:94 offset1:149
	v_add_u32_e32 v3, 0x600, v139
	v_add_u32_e32 v11, 0x1600, v139
	ds_read2_b32 v[44:45], v3 offset0:76 offset1:141
	ds_read2_b32 v[3:4], v0 offset0:188 offset1:243
	ds_read2_b32 v[42:43], v2 offset0:42 offset1:107
	ds_read2_b32 v[68:69], v29 offset0:26 offset1:81
	ds_read2_b32 v[40:41], v29 offset0:136 offset1:201
	ds_read2_b32 v[66:67], v7 offset0:120 offset1:175
	ds_read2_b32 v[38:39], v11 offset0:102 offset1:167
	ds_read2_b32 v[64:65], v46 offset0:86 offset1:141
	ds_read2_b32 v[62:63], v9 offset0:102 offset1:157
	ds_read2_b32 v[60:61], v0 offset0:68 offset1:123
	ds_read2_b32 v[56:57], v2 offset0:162 offset1:217
	ds_read2_b32 v[50:51], v7 offset1:55
	ds_read2_b32 v[46:47], v1 offset0:94 offset1:149
	ds_read_b32 v113, v139 offset:7440
	v_lshrrev_b32_e32 v32, 16, v13
	v_cmp_gt_u16_e64 s[0:1], 10, v174
	v_lshrrev_b32_e32 v117, 16, v10
                                        ; implicit-def: $vgpr48
                                        ; implicit-def: $vgpr52
                                        ; implicit-def: $vgpr55
	s_and_saveexec_b64 s[4:5], s[0:1]
	s_cbranch_execz .LBB0_3
; %bb.2:
	ds_read2_b32 v[32:33], v9 offset0:37 offset1:212
	ds_read2_b32 v[58:59], v0 offset0:3 offset1:178
	v_add_u32_e32 v0, 0xd00, v139
	ds_read2_b32 v[54:55], v0 offset0:33 offset1:208
	ds_read2_b32 v[48:49], v8 offset0:63 offset1:238
	ds_read2_b32 v[52:53], v1 offset0:29 offset1:204
	ds_read_b32 v116, v139 offset:7660
	s_waitcnt lgkmcnt(5)
	v_lshrrev_b32_e32 v74, 16, v32
	v_lshrrev_b32_e32 v117, 16, v33
	s_waitcnt lgkmcnt(4)
	v_lshrrev_b32_e32 v192, 16, v58
	v_lshrrev_b32_e32 v189, 16, v59
	;; [unrolled: 3-line block ×5, first 2 shown]
	s_waitcnt lgkmcnt(0)
	v_lshrrev_b32_e32 v123, 16, v116
.LBB0_3:
	s_or_b64 exec, exec, s[4:5]
	v_mov_b32_e32 v0, 37
	v_mul_lo_u16_sdwa v1, v174, v0 dst_sel:DWORD dst_unused:UNUSED_PAD src0_sel:BYTE_0 src1_sel:DWORD
	v_sub_u16_sdwa v2, v174, v1 dst_sel:DWORD dst_unused:UNUSED_PAD src0_sel:DWORD src1_sel:BYTE_1
	v_lshrrev_b16_e32 v2, 1, v2
	v_and_b32_e32 v2, 0x7f, v2
	v_add_u16_sdwa v1, v2, v1 dst_sel:DWORD dst_unused:UNUSED_PAD src0_sel:DWORD src1_sel:BYTE_1
	v_lshrrev_b16_e32 v80, 2, v1
	v_mul_lo_u16_e32 v1, 7, v80
	v_sub_u16_e32 v1, v174, v1
	v_and_b32_e32 v81, 0xff, v1
	v_mul_u32_u24_e32 v1, 10, v81
	v_lshlrev_b32_e32 v1, 2, v1
	global_load_dwordx4 v[8:11], v1, s[14:15]
	global_load_dwordx4 v[12:15], v1, s[14:15] offset:16
	v_mul_lo_u16_sdwa v24, v71, v0 dst_sel:DWORD dst_unused:UNUSED_PAD src0_sel:BYTE_0 src1_sel:DWORD
	v_sub_u16_sdwa v20, v71, v24 dst_sel:DWORD dst_unused:UNUSED_PAD src0_sel:DWORD src1_sel:BYTE_1
	v_lshrrev_b16_e32 v20, 1, v20
	v_and_b32_e32 v25, 0x7f, v20
	v_add_u16_sdwa v24, v25, v24 dst_sel:DWORD dst_unused:UNUSED_PAD src0_sel:DWORD src1_sel:BYTE_1
	v_lshrrev_b16_e32 v75, 2, v24
	v_mul_lo_u16_e32 v24, 7, v75
	v_mul_lo_u16_sdwa v16, v70, v0 dst_sel:DWORD dst_unused:UNUSED_PAD src0_sel:BYTE_0 src1_sel:DWORD
	v_sub_u16_e32 v24, v71, v24
	v_sub_u16_sdwa v17, v70, v16 dst_sel:DWORD dst_unused:UNUSED_PAD src0_sel:DWORD src1_sel:BYTE_1
	v_and_b32_e32 v77, 0xff, v24
	s_waitcnt lgkmcnt(14)
	v_lshrrev_b32_e32 v7, 16, v5
	s_waitcnt lgkmcnt(13)
	v_lshrrev_b32_e32 v28, 16, v45
	v_lshrrev_b16_e32 v17, 1, v17
	v_mul_u32_u24_e32 v24, 10, v77
	v_lshrrev_b32_e32 v2, 16, v35
	v_and_b32_e32 v17, 0x7f, v17
	v_lshlrev_b32_e32 v118, 2, v24
	global_load_dwordx2 v[91:92], v1, s[14:15] offset:32
	s_waitcnt lgkmcnt(12)
	v_lshrrev_b32_e32 v29, 16, v3
	s_waitcnt lgkmcnt(11)
	v_lshrrev_b32_e32 v30, 16, v43
	;; [unrolled: 2-line block ×8, first 2 shown]
	v_mul_lo_u16_sdwa v0, v72, v0 dst_sel:DWORD dst_unused:UNUSED_PAD src0_sel:BYTE_0 src1_sel:DWORD
	v_lshrrev_b32_e32 v98, 16, v6
	s_waitcnt lgkmcnt(4)
	v_lshrrev_b32_e32 v99, 16, v60
	v_lshrrev_b32_e32 v100, 16, v4
	s_waitcnt lgkmcnt(3)
	v_lshrrev_b32_e32 v101, 16, v56
	s_waitcnt lgkmcnt(1)
	v_lshrrev_b32_e32 v124, 16, v46
	v_lshrrev_b32_e32 v125, 16, v65
	;; [unrolled: 1-line block ×14, first 2 shown]
	s_waitcnt lgkmcnt(0)
	v_lshrrev_b32_e32 v200, 16, v113
	s_movk_i32 s6, 0x3abb
	s_movk_i32 s5, 0x36a6
	s_mov_b32 s4, 0xb08e
	s_mov_b32 s7, 0xb93d
	;; [unrolled: 1-line block ×3, first 2 shown]
	v_mul_u32_u24_e32 v80, 0x4d, v80
	s_waitcnt vmcnt(2)
	v_mul_f16_sdwa v24, v35, v8 dst_sel:DWORD dst_unused:UNUSED_PAD src0_sel:DWORD src1_sel:WORD_1
	v_mul_f16_sdwa v25, v7, v9 dst_sel:DWORD dst_unused:UNUSED_PAD src0_sel:DWORD src1_sel:WORD_1
	;; [unrolled: 1-line block ×4, first 2 shown]
	v_fma_f16 v202, v2, v8, v24
	v_fma_f16 v193, v5, v9, -v25
	v_fma_f16 v194, v7, v9, v26
	v_fma_f16 v106, v45, v10, -v27
	global_load_dwordx4 v[24:27], v118, s[14:15]
	v_add_u16_sdwa v1, v17, v16 dst_sel:DWORD dst_unused:UNUSED_PAD src0_sel:DWORD src1_sel:BYTE_1
	v_lshrrev_b16_e32 v78, 2, v1
	v_mul_lo_u16_e32 v1, 7, v78
	v_sub_u16_e32 v1, v70, v1
	v_and_b32_e32 v79, 0xff, v1
	v_mul_u32_u24_e32 v1, 10, v79
	v_lshlrev_b32_e32 v1, 2, v1
	global_load_dwordx4 v[16:19], v1, s[14:15]
	global_load_dwordx4 v[20:23], v1, s[14:15] offset:16
	global_load_dwordx2 v[93:94], v1, s[14:15] offset:32
	v_mul_f16_sdwa v82, v45, v10 dst_sel:DWORD dst_unused:UNUSED_PAD src0_sel:DWORD src1_sel:WORD_1
	v_mul_f16_sdwa v83, v29, v11 dst_sel:DWORD dst_unused:UNUSED_PAD src0_sel:DWORD src1_sel:WORD_1
	;; [unrolled: 1-line block ×3, first 2 shown]
	s_waitcnt vmcnt(5)
	v_mul_f16_sdwa v105, v43, v12 dst_sel:DWORD dst_unused:UNUSED_PAD src0_sel:DWORD src1_sel:WORD_1
	v_mul_f16_sdwa v115, v68, v13 dst_sel:DWORD dst_unused:UNUSED_PAD src0_sel:DWORD src1_sel:WORD_1
	;; [unrolled: 1-line block ×4, first 2 shown]
	v_fma_f16 v112, v28, v10, v82
	v_fma_f16 v85, v3, v11, -v83
	v_fma_f16 v86, v29, v11, v84
	v_fma_f16 v83, v30, v12, v105
	;; [unrolled: 1-line block ×3, first 2 shown]
	global_load_dwordx4 v[28:31], v118, s[14:15] offset:16
	v_mul_f16_sdwa v1, v2, v8 dst_sel:DWORD dst_unused:UNUSED_PAD src0_sel:DWORD src1_sel:WORD_1
	v_fma_f16 v201, v35, v8, -v1
	v_mul_f16_sdwa v1, v89, v14 dst_sel:DWORD dst_unused:UNUSED_PAD src0_sel:DWORD src1_sel:WORD_1
	v_fma_f16 v82, v43, v12, -v87
	v_fma_f16 v87, v41, v14, -v1
	v_mul_f16_sdwa v1, v41, v14 dst_sel:DWORD dst_unused:UNUSED_PAD src0_sel:DWORD src1_sel:WORD_1
	v_fma_f16 v105, v89, v14, v1
	v_mul_f16_sdwa v1, v90, v15 dst_sel:DWORD dst_unused:UNUSED_PAD src0_sel:DWORD src1_sel:WORD_1
	v_fma_f16 v68, v68, v13, -v114
	v_fma_f16 v114, v66, v15, -v1
	v_mul_f16_sdwa v1, v66, v15 dst_sel:DWORD dst_unused:UNUSED_PAD src0_sel:DWORD src1_sel:WORD_1
	v_fma_f16 v115, v90, v15, v1
	s_waitcnt vmcnt(5)
	v_mul_f16_sdwa v1, v95, v91 dst_sel:DWORD dst_unused:UNUSED_PAD src0_sel:DWORD src1_sel:WORD_1
	v_fma_f16 v195, v39, v91, -v1
	v_mul_f16_sdwa v1, v39, v91 dst_sel:DWORD dst_unused:UNUSED_PAD src0_sel:DWORD src1_sel:WORD_1
	v_fma_f16 v196, v95, v91, v1
	v_mul_f16_sdwa v1, v96, v92 dst_sel:DWORD dst_unused:UNUSED_PAD src0_sel:DWORD src1_sel:WORD_1
	v_fma_f16 v203, v64, v92, -v1
	v_mul_f16_sdwa v1, v64, v92 dst_sel:DWORD dst_unused:UNUSED_PAD src0_sel:DWORD src1_sel:WORD_1
	v_fma_f16 v204, v96, v92, v1
	global_load_dwordx2 v[95:96], v118, s[14:15] offset:32
	s_waitcnt vmcnt(4)
	v_mul_f16_sdwa v1, v97, v16 dst_sel:DWORD dst_unused:UNUSED_PAD src0_sel:DWORD src1_sel:WORD_1
	v_fma_f16 v183, v62, v16, -v1
	v_sub_u16_sdwa v1, v72, v0 dst_sel:DWORD dst_unused:UNUSED_PAD src0_sel:DWORD src1_sel:BYTE_1
	v_lshrrev_b16_e32 v1, 1, v1
	v_mul_f16_sdwa v5, v62, v16 dst_sel:DWORD dst_unused:UNUSED_PAD src0_sel:DWORD src1_sel:WORD_1
	v_and_b32_e32 v1, 0x7f, v1
	v_add_u16_sdwa v0, v1, v0 dst_sel:DWORD dst_unused:UNUSED_PAD src0_sel:DWORD src1_sel:BYTE_1
	v_fma_f16 v184, v97, v16, v5
	v_mul_f16_sdwa v5, v98, v17 dst_sel:DWORD dst_unused:UNUSED_PAD src0_sel:DWORD src1_sel:WORD_1
	v_lshrrev_b16_e32 v0, 2, v0
	v_fma_f16 v179, v6, v17, -v5
	v_mul_f16_sdwa v5, v6, v17 dst_sel:DWORD dst_unused:UNUSED_PAD src0_sel:DWORD src1_sel:WORD_1
	buffer_store_dword v0, off, s[28:31], 0 ; 4-byte Folded Spill
	v_mul_lo_u16_e32 v0, 7, v0
	v_fma_f16 v180, v98, v17, v5
	v_mul_f16_sdwa v5, v99, v18 dst_sel:DWORD dst_unused:UNUSED_PAD src0_sel:DWORD src1_sel:WORD_1
	v_sub_u16_e32 v0, v72, v0
	v_fma_f16 v134, v60, v18, -v5
	v_mul_f16_sdwa v5, v60, v18 dst_sel:DWORD dst_unused:UNUSED_PAD src0_sel:DWORD src1_sel:WORD_1
	v_and_b32_e32 v177, 0xff, v0
	v_fma_f16 v135, v99, v18, v5
	v_mul_f16_sdwa v5, v100, v19 dst_sel:DWORD dst_unused:UNUSED_PAD src0_sel:DWORD src1_sel:WORD_1
	v_mul_u32_u24_e32 v0, 10, v177
	v_fma_f16 v119, v4, v19, -v5
	v_mul_f16_sdwa v4, v4, v19 dst_sel:DWORD dst_unused:UNUSED_PAD src0_sel:DWORD src1_sel:WORD_1
	v_lshlrev_b32_e32 v35, 2, v0
	global_load_dwordx2 v[89:90], v35, s[14:15] offset:32
	v_fma_f16 v120, v100, v19, v4
	s_waitcnt vmcnt(5)
	v_mul_f16_sdwa v4, v101, v20 dst_sel:DWORD dst_unused:UNUSED_PAD src0_sel:DWORD src1_sel:WORD_1
	global_load_dwordx4 v[0:3], v35, s[14:15]
	v_fma_f16 v62, v56, v20, -v4
	global_load_dwordx4 v[4:7], v35, s[14:15] offset:16
	s_waitcnt vmcnt(6)
	v_mul_f16_sdwa v35, v46, v93 dst_sel:DWORD dst_unused:UNUSED_PAD src0_sel:DWORD src1_sel:WORD_1
	v_mul_f16_sdwa v39, v56, v20 dst_sel:DWORD dst_unused:UNUSED_PAD src0_sel:DWORD src1_sel:WORD_1
	v_fma_f16 v182, v124, v93, v35
	v_mul_f16_sdwa v35, v125, v94 dst_sel:DWORD dst_unused:UNUSED_PAD src0_sel:DWORD src1_sel:WORD_1
	v_fma_f16 v64, v101, v20, v39
	v_mul_f16_sdwa v39, v102, v21 dst_sel:DWORD dst_unused:UNUSED_PAD src0_sel:DWORD src1_sel:WORD_1
	v_fma_f16 v185, v65, v94, -v35
	v_mul_f16_sdwa v35, v65, v94 dst_sel:DWORD dst_unused:UNUSED_PAD src0_sel:DWORD src1_sel:WORD_1
	v_fma_f16 v66, v69, v21, -v39
	v_mul_f16_sdwa v39, v69, v21 dst_sel:DWORD dst_unused:UNUSED_PAD src0_sel:DWORD src1_sel:WORD_1
	v_fma_f16 v65, v125, v94, v35
	v_mul_f16_sdwa v35, v126, v24 dst_sel:DWORD dst_unused:UNUSED_PAD src0_sel:DWORD src1_sel:WORD_1
	v_fma_f16 v118, v102, v21, v39
	v_mul_f16_sdwa v39, v103, v22 dst_sel:DWORD dst_unused:UNUSED_PAD src0_sel:DWORD src1_sel:WORD_1
	v_fma_f16 v137, v63, v24, -v35
	v_mul_f16_sdwa v35, v63, v24 dst_sel:DWORD dst_unused:UNUSED_PAD src0_sel:DWORD src1_sel:WORD_1
	v_fma_f16 v121, v50, v22, -v39
	v_mul_f16_sdwa v39, v50, v22 dst_sel:DWORD dst_unused:UNUSED_PAD src0_sel:DWORD src1_sel:WORD_1
	v_fma_f16 v133, v126, v24, v35
	v_mul_f16_sdwa v35, v127, v25 dst_sel:DWORD dst_unused:UNUSED_PAD src0_sel:DWORD src1_sel:WORD_1
	v_fma_f16 v132, v103, v22, v39
	v_mul_f16_sdwa v39, v104, v23 dst_sel:DWORD dst_unused:UNUSED_PAD src0_sel:DWORD src1_sel:WORD_1
	v_fma_f16 v128, v44, v25, -v35
	v_mul_f16_sdwa v35, v44, v25 dst_sel:DWORD dst_unused:UNUSED_PAD src0_sel:DWORD src1_sel:WORD_1
	v_fma_f16 v136, v67, v23, -v39
	v_mul_f16_sdwa v39, v67, v23 dst_sel:DWORD dst_unused:UNUSED_PAD src0_sel:DWORD src1_sel:WORD_1
	v_fma_f16 v129, v127, v25, v35
	v_mul_f16_sdwa v35, v130, v26 dst_sel:DWORD dst_unused:UNUSED_PAD src0_sel:DWORD src1_sel:WORD_1
	v_fma_f16 v67, v104, v23, v39
	v_mul_f16_sdwa v39, v124, v93 dst_sel:DWORD dst_unused:UNUSED_PAD src0_sel:DWORD src1_sel:WORD_1
	v_fma_f16 v124, v61, v26, -v35
	v_mul_f16_sdwa v35, v61, v26 dst_sel:DWORD dst_unused:UNUSED_PAD src0_sel:DWORD src1_sel:WORD_1
	v_fma_f16 v125, v130, v26, v35
	v_mul_f16_sdwa v35, v131, v27 dst_sel:DWORD dst_unused:UNUSED_PAD src0_sel:DWORD src1_sel:WORD_1
	v_fma_f16 v101, v42, v27, -v35
	v_mul_f16_sdwa v35, v42, v27 dst_sel:DWORD dst_unused:UNUSED_PAD src0_sel:DWORD src1_sel:WORD_1
	v_fma_f16 v102, v131, v27, v35
	s_waitcnt vmcnt(5)
	v_mul_f16_sdwa v35, v138, v28 dst_sel:DWORD dst_unused:UNUSED_PAD src0_sel:DWORD src1_sel:WORD_1
	v_fma_f16 v97, v57, v28, -v35
	v_mul_f16_sdwa v35, v57, v28 dst_sel:DWORD dst_unused:UNUSED_PAD src0_sel:DWORD src1_sel:WORD_1
	v_fma_f16 v98, v138, v28, v35
	v_mul_f16_sdwa v35, v178, v29 dst_sel:DWORD dst_unused:UNUSED_PAD src0_sel:DWORD src1_sel:WORD_1
	v_fma_f16 v99, v40, v29, -v35
	v_mul_f16_sdwa v35, v40, v29 dst_sel:DWORD dst_unused:UNUSED_PAD src0_sel:DWORD src1_sel:WORD_1
	v_fma_f16 v100, v178, v29, v35
	;; [unrolled: 4-line block ×4, first 2 shown]
	s_waitcnt vmcnt(4)
	v_mul_f16_sdwa v35, v199, v95 dst_sel:DWORD dst_unused:UNUSED_PAD src0_sel:DWORD src1_sel:WORD_1
	v_fma_f16 v130, v47, v95, -v35
	v_mul_f16_sdwa v35, v47, v95 dst_sel:DWORD dst_unused:UNUSED_PAD src0_sel:DWORD src1_sel:WORD_1
	v_fma_f16 v131, v199, v95, v35
	v_mul_f16_sdwa v35, v200, v96 dst_sel:DWORD dst_unused:UNUSED_PAD src0_sel:DWORD src1_sel:WORD_1
	v_add_f16_e32 v56, v36, v201
	v_fma_f16 v181, v46, v93, -v39
	v_fma_f16 v178, v113, v96, -v35
	v_mul_f16_sdwa v35, v113, v96 dst_sel:DWORD dst_unused:UNUSED_PAD src0_sel:DWORD src1_sel:WORD_1
	v_add_f16_e32 v56, v56, v193
	v_fma_f16 v138, v200, v96, v35
	v_add_f16_e32 v56, v56, v106
	v_add_f16_e32 v56, v56, v85
	v_sub_f16_e32 v60, v201, v203
	v_sub_f16_e32 v61, v202, v204
	v_add_f16_sdwa v57, v36, v202 dst_sel:DWORD dst_unused:UNUSED_PAD src0_sel:WORD_1 src1_sel:DWORD
	v_add_f16_e32 v56, v56, v82
	v_mul_f16_e32 v63, 0xb853, v61
	v_mul_f16_e32 v113, 0xb853, v60
	;; [unrolled: 1-line block ×3, first 2 shown]
	v_add_f16_e32 v57, v57, v194
	v_add_f16_e32 v56, v56, v68
	;; [unrolled: 1-line block ×4, first 2 shown]
	s_waitcnt vmcnt(1)
	v_mul_f16_sdwa v40, v190, v3 dst_sel:DWORD dst_unused:UNUSED_PAD src0_sel:DWORD src1_sel:WORD_1
	v_mul_f16_sdwa v35, v117, v0 dst_sel:DWORD dst_unused:UNUSED_PAD src0_sel:DWORD src1_sel:WORD_1
	s_waitcnt vmcnt(0)
	v_mul_f16_sdwa v44, v188, v5 dst_sel:DWORD dst_unused:UNUSED_PAD src0_sel:DWORD src1_sel:WORD_1
	v_fma_f16 v50, v48, v5, -v44
	v_mul_f16_sdwa v44, v48, v5 dst_sel:DWORD dst_unused:UNUSED_PAD src0_sel:DWORD src1_sel:WORD_1
	v_mul_f16_sdwa v46, v187, v6 dst_sel:DWORD dst_unused:UNUSED_PAD src0_sel:DWORD src1_sel:WORD_1
	;; [unrolled: 1-line block ×4, first 2 shown]
	v_fma_f16 v45, v54, v3, -v40
	v_mul_f16_sdwa v40, v54, v3 dst_sel:DWORD dst_unused:UNUSED_PAD src0_sel:DWORD src1_sel:WORD_1
	v_mul_f16_sdwa v42, v191, v4 dst_sel:DWORD dst_unused:UNUSED_PAD src0_sel:DWORD src1_sel:WORD_1
	v_fma_f16 v51, v49, v6, -v46
	v_mul_f16_sdwa v46, v49, v6 dst_sel:DWORD dst_unused:UNUSED_PAD src0_sel:DWORD src1_sel:WORD_1
	v_fma_f16 v54, v52, v7, -v48
	v_mul_f16_sdwa v48, v52, v7 dst_sel:DWORD dst_unused:UNUSED_PAD src0_sel:DWORD src1_sel:WORD_1
	v_mul_f16_sdwa v49, v122, v89 dst_sel:DWORD dst_unused:UNUSED_PAD src0_sel:DWORD src1_sel:WORD_1
	;; [unrolled: 1-line block ×3, first 2 shown]
	v_fma_f16 v39, v33, v0, -v35
	v_mul_f16_sdwa v33, v33, v0 dst_sel:DWORD dst_unused:UNUSED_PAD src0_sel:DWORD src1_sel:WORD_1
	v_mul_f16_sdwa v35, v192, v1 dst_sel:DWORD dst_unused:UNUSED_PAD src0_sel:DWORD src1_sel:WORD_1
	v_fma_f16 v43, v59, v2, -v38
	v_mul_f16_sdwa v38, v59, v2 dst_sel:DWORD dst_unused:UNUSED_PAD src0_sel:DWORD src1_sel:WORD_1
	v_fma_f16 v47, v55, v4, -v42
	;; [unrolled: 2-line block ×4, first 2 shown]
	v_mul_f16_sdwa v52, v116, v90 dst_sel:DWORD dst_unused:UNUSED_PAD src0_sel:DWORD src1_sel:WORD_1
	v_fma_f16 v33, v117, v0, v33
	v_fma_f16 v41, v58, v1, -v35
	v_mul_f16_sdwa v35, v58, v1 dst_sel:DWORD dst_unused:UNUSED_PAD src0_sel:DWORD src1_sel:WORD_1
	v_fma_f16 v38, v189, v2, v38
	v_fma_f16 v42, v191, v4, v42
	;; [unrolled: 1-line block ×4, first 2 shown]
	v_add_f16_e32 v58, v201, v203
	v_add_f16_e32 v59, v202, v204
	v_mul_f16_e32 v117, 0xbb47, v61
	v_mul_f16_e32 v123, 0xbb47, v60
	;; [unrolled: 1-line block ×7, first 2 shown]
	v_fma_f16 v35, v192, v1, v35
	v_fma_f16 v40, v190, v3, v40
	;; [unrolled: 1-line block ×5, first 2 shown]
	v_fma_f16 v69, v58, s6, -v63
	v_fma_f16 v116, v59, s6, v113
	v_fma_f16 v63, v58, s6, v63
	v_fma_f16 v113, v59, s6, -v113
	v_fma_f16 v122, v58, s5, -v117
	v_fma_f16 v186, v59, s5, v123
	v_fma_f16 v117, v58, s5, v117
	v_fma_f16 v123, v59, s5, -v123
	;; [unrolled: 4-line block ×5, first 2 shown]
	v_add_f16_e32 v69, v36, v69
	v_add_f16_sdwa v116, v36, v116 dst_sel:DWORD dst_unused:UNUSED_PAD src0_sel:WORD_1 src1_sel:DWORD
	v_add_f16_e32 v63, v36, v63
	v_add_f16_sdwa v113, v36, v113 dst_sel:DWORD dst_unused:UNUSED_PAD src0_sel:WORD_1 src1_sel:DWORD
	;; [unrolled: 2-line block ×10, first 2 shown]
	v_add_f16_e32 v59, v193, v195
	v_sub_f16_e32 v61, v193, v195
	v_sub_f16_e32 v193, v194, v196
	v_add_f16_e32 v57, v57, v86
	v_add_f16_e32 v56, v56, v114
	;; [unrolled: 1-line block ×3, first 2 shown]
	v_mul_f16_e32 v194, 0xbb47, v193
	v_add_f16_e32 v57, v57, v83
	v_add_f16_e32 v56, v56, v195
	v_fma_f16 v195, v59, s5, -v194
	v_add_f16_e32 v57, v57, v84
	v_add_f16_e32 v69, v195, v69
	v_mul_f16_e32 v195, 0xbb47, v61
	v_fma_f16 v194, v59, s5, v194
	v_add_f16_e32 v57, v57, v105
	v_add_f16_e32 v63, v194, v63
	v_fma_f16 v194, v60, s5, -v195
	v_add_f16_e32 v57, v57, v115
	v_add_f16_e32 v113, v194, v113
	v_mul_f16_e32 v194, 0xba0c, v193
	v_add_f16_e32 v57, v57, v196
	v_fma_f16 v196, v60, s5, v195
	v_fma_f16 v195, v59, s7, -v194
	v_add_f16_e32 v122, v195, v122
	v_mul_f16_e32 v195, 0xba0c, v61
	v_fma_f16 v194, v59, s7, v194
	v_add_f16_e32 v117, v194, v117
	v_fma_f16 v194, v60, s7, -v195
	v_add_f16_e32 v123, v194, v123
	v_mul_f16_e32 v194, 0x3482, v193
	v_add_f16_e32 v116, v196, v116
	v_fma_f16 v196, v60, s7, v195
	v_fma_f16 v195, v59, s16, -v194
	v_add_f16_e32 v188, v195, v188
	v_mul_f16_e32 v195, 0x3482, v61
	v_fma_f16 v194, v59, s16, v194
	v_add_f16_e32 v187, v194, v187
	v_fma_f16 v194, v60, s16, -v195
	v_add_f16_e32 v189, v194, v189
	v_mul_f16_e32 v194, 0x3beb, v193
	v_add_f16_e32 v186, v196, v186
	v_fma_f16 v196, v60, s16, v195
	v_fma_f16 v195, v59, s4, -v194
	v_add_f16_e32 v192, v195, v192
	v_mul_f16_e32 v195, 0x3beb, v61
	v_fma_f16 v194, v59, s4, v194
	v_mul_f16_e32 v193, 0x3853, v193
	v_add_f16_e32 v190, v196, v190
	v_fma_f16 v196, v60, s4, v195
	v_add_f16_e32 v191, v194, v191
	v_fma_f16 v194, v60, s4, -v195
	v_fma_f16 v195, v59, s6, -v193
	v_mul_f16_e32 v61, 0x3853, v61
	v_fma_f16 v59, v59, s6, v193
	v_add_f16_e32 v58, v59, v58
	v_fma_f16 v59, v60, s6, -v61
	v_add_f16_e32 v194, v194, v197
	v_fma_f16 v197, v60, s6, v61
	v_add_f16_e32 v36, v59, v36
	v_add_f16_e32 v59, v106, v114
	v_sub_f16_e32 v61, v106, v114
	v_sub_f16_e32 v106, v112, v115
	v_add_f16_e32 v60, v112, v115
	v_mul_f16_e32 v112, 0xbbeb, v106
	v_fma_f16 v114, v59, s4, -v112
	v_add_f16_e32 v69, v114, v69
	v_mul_f16_e32 v114, 0xbbeb, v61
	v_fma_f16 v112, v59, s4, v112
	v_add_f16_e32 v63, v112, v63
	v_fma_f16 v112, v60, s4, -v114
	v_fma_f16 v115, v60, s4, v114
	v_add_f16_e32 v112, v112, v113
	v_mul_f16_e32 v113, 0x3482, v106
	v_add_f16_e32 v115, v115, v116
	v_fma_f16 v114, v59, s16, -v113
	v_mul_f16_e32 v116, 0x3482, v61
	v_fma_f16 v113, v59, s16, v113
	v_add_f16_e32 v114, v114, v122
	v_fma_f16 v122, v60, s16, v116
	v_add_f16_e32 v113, v113, v117
	v_fma_f16 v116, v60, s16, -v116
	v_mul_f16_e32 v117, 0x3b47, v106
	v_add_f16_e32 v122, v122, v186
	v_add_f16_e32 v116, v116, v123
	v_fma_f16 v123, v59, s5, -v117
	v_mul_f16_e32 v186, 0x3b47, v61
	v_fma_f16 v117, v59, s5, v117
	v_add_f16_e32 v123, v123, v188
	v_fma_f16 v188, v60, s5, v186
	v_add_f16_e32 v117, v117, v187
	v_fma_f16 v186, v60, s5, -v186
	v_mul_f16_e32 v187, 0xb853, v106
	v_add_f16_e32 v186, v186, v189
	v_fma_f16 v189, v59, s6, -v187
	v_fma_f16 v187, v59, s6, v187
	v_mul_f16_e32 v106, 0xba0c, v106
	v_add_f16_e32 v188, v188, v190
	v_mul_f16_e32 v190, 0xb853, v61
	v_add_f16_e32 v187, v187, v191
	v_fma_f16 v191, v59, s7, -v106
	v_mul_f16_e32 v61, 0xba0c, v61
	v_fma_f16 v59, v59, s7, v106
	v_add_f16_e32 v58, v59, v58
	v_fma_f16 v59, v60, s7, -v61
	v_fma_f16 v193, v60, s7, v61
	v_add_f16_e32 v36, v59, v36
	v_add_f16_e32 v59, v85, v87
	v_sub_f16_e32 v61, v85, v87
	v_sub_f16_e32 v85, v86, v105
	v_add_f16_e32 v189, v189, v192
	v_fma_f16 v192, v60, s6, v190
	v_fma_f16 v190, v60, s6, -v190
	v_add_f16_e32 v60, v86, v105
	v_mul_f16_e32 v86, 0xba0c, v85
	v_fma_f16 v87, v59, s7, -v86
	v_add_f16_e32 v69, v87, v69
	v_mul_f16_e32 v87, 0xba0c, v61
	v_fma_f16 v86, v59, s7, v86
	v_fma_f16 v105, v60, s7, v87
	v_add_f16_e32 v63, v86, v63
	v_fma_f16 v86, v60, s7, -v87
	v_mul_f16_e32 v87, 0x3beb, v85
	v_add_f16_e32 v86, v86, v112
	v_fma_f16 v106, v59, s4, -v87
	v_mul_f16_e32 v112, 0x3beb, v61
	v_fma_f16 v87, v59, s4, v87
	v_add_f16_e32 v106, v106, v114
	v_fma_f16 v114, v60, s4, v112
	v_add_f16_e32 v87, v87, v113
	v_mul_f16_e32 v113, 0xb853, v85
	v_add_f16_e32 v105, v105, v115
	v_add_f16_e32 v115, v114, v122
	v_fma_f16 v112, v60, s4, -v112
	v_fma_f16 v114, v59, s6, -v113
	v_add_f16_e32 v112, v112, v116
	v_add_f16_e32 v116, v114, v123
	v_mul_f16_e32 v114, 0xb853, v61
	v_fma_f16 v122, v60, s6, v114
	v_fma_f16 v114, v60, s6, -v114
	v_fma_f16 v113, v59, s6, v113
	v_add_f16_e32 v186, v114, v186
	v_mul_f16_e32 v114, 0xb482, v85
	v_add_f16_e32 v113, v113, v117
	v_fma_f16 v117, v59, s16, -v114
	v_add_f16_e32 v189, v117, v189
	v_mul_f16_e32 v117, 0xb482, v61
	v_fma_f16 v114, v59, s16, v114
	v_add_f16_e32 v190, v190, v194
	v_add_f16_e32 v187, v114, v187
	v_fma_f16 v114, v60, s16, -v117
	v_mul_f16_e32 v85, 0x3b47, v85
	v_add_f16_e32 v196, v196, v198
	v_add_f16_e32 v195, v195, v199
	;; [unrolled: 1-line block ×3, first 2 shown]
	v_fma_f16 v114, v59, s5, -v85
	v_mul_f16_e32 v61, 0x3b47, v61
	v_fma_f16 v59, v59, s5, v85
	v_add_f16_e32 v192, v192, v196
	v_add_f16_e32 v191, v191, v195
	;; [unrolled: 1-line block ×3, first 2 shown]
	v_fma_f16 v58, v60, s5, -v61
	v_sub_f16_e32 v196, v83, v84
	v_add_f16_e32 v188, v122, v188
	v_fma_f16 v122, v60, s16, v117
	v_add_f16_e32 v191, v114, v191
	v_fma_f16 v114, v60, s5, v61
	v_add_f16_e32 v60, v58, v36
	v_add_f16_e32 v61, v82, v68
	v_mul_f16_e32 v36, 0xb482, v196
	v_sub_f16_e32 v195, v82, v68
	v_fma_f16 v58, v61, s16, -v36
	v_add_f16_e32 v192, v122, v192
	v_add_f16_e32 v194, v83, v84
	;; [unrolled: 1-line block ×3, first 2 shown]
	v_mul_f16_e32 v58, 0xb482, v195
	v_fma_f16 v36, v61, s16, v36
	v_add_f16_e32 v197, v197, v200
	v_fma_f16 v68, v194, s16, v58
	v_add_f16_e32 v36, v36, v63
	v_mul_f16_e32 v63, 0x3853, v196
	v_add_f16_e32 v193, v193, v197
	v_add_f16_e32 v123, v68, v105
	v_fma_f16 v68, v61, s6, -v63
	v_mul_f16_e32 v69, 0x3853, v195
	v_add_f16_e32 v193, v114, v193
	v_add_f16_e32 v114, v68, v106
	v_fma_f16 v68, v194, s6, v69
	v_fma_f16 v63, v61, s6, v63
	v_add_f16_e32 v115, v68, v115
	v_add_f16_e32 v68, v63, v87
	v_fma_f16 v63, v194, s6, -v69
	v_add_f16_e32 v69, v63, v112
	v_mul_f16_e32 v63, 0xba0c, v196
	v_fma_f16 v82, v61, s7, -v63
	v_mul_f16_e32 v83, 0xba0c, v195
	v_add_f16_e32 v116, v82, v116
	v_fma_f16 v82, v194, s7, v83
	v_fma_f16 v63, v61, s7, v63
	v_add_f16_e32 v117, v82, v188
	v_add_f16_e32 v82, v63, v113
	v_fma_f16 v63, v194, s7, -v83
	v_add_f16_e32 v83, v63, v186
	v_mul_f16_e32 v63, 0x3b47, v196
	v_fma_f16 v84, v61, s5, -v63
	v_mul_f16_e32 v85, 0x3b47, v195
	v_add_f16_e32 v105, v84, v189
	v_fma_f16 v84, v194, s5, v85
	v_fma_f16 v63, v61, s5, v63
	v_add_f16_e32 v106, v84, v192
	v_add_f16_e32 v84, v63, v187
	v_fma_f16 v63, v194, s5, -v85
	v_fma_f16 v58, v194, s16, -v58
	v_add_f16_e32 v85, v63, v190
	v_mul_f16_e32 v63, 0xbbeb, v196
	v_add_f16_e32 v58, v58, v86
	v_fma_f16 v86, v61, s4, -v63
	v_mul_f16_e32 v87, 0xbbeb, v195
	v_add_f16_e32 v112, v86, v191
	v_fma_f16 v86, v194, s4, v87
	v_fma_f16 v61, v61, s4, v63
	v_add_f16_e32 v113, v86, v193
	v_add_f16_e32 v86, v61, v59
	v_fma_f16 v59, v194, s4, -v87
	v_add_f16_e32 v87, v59, v60
	v_add_f16_sdwa v60, v37, v184 dst_sel:DWORD dst_unused:UNUSED_PAD src0_sel:WORD_1 src1_sel:DWORD
	v_add_f16_e32 v60, v60, v180
	v_add_f16_e32 v59, v37, v183
	v_add_f16_e32 v60, v60, v135
	v_add_f16_e32 v59, v59, v179
	v_add_f16_e32 v60, v60, v120
	v_add_f16_e32 v59, v59, v134
	v_add_f16_e32 v60, v60, v64
	v_add_f16_e32 v59, v59, v119
	v_add_f16_e32 v60, v60, v118
	v_add_f16_e32 v59, v59, v62
	v_add_f16_e32 v60, v60, v132
	v_add_f16_e32 v59, v59, v66
	v_add_f16_e32 v60, v60, v67
	v_add_f16_e32 v59, v59, v121
	v_add_f16_e32 v60, v60, v182
	v_add_f16_e32 v59, v59, v136
	v_add_f16_e32 v60, v60, v65
	v_add_f16_e32 v61, v183, v185
	v_add_f16_e32 v63, v184, v65
	v_sub_f16_e32 v183, v183, v185
	v_sub_f16_e32 v65, v184, v65
	v_add_f16_e32 v59, v59, v181
	v_mul_f16_e32 v184, 0xb853, v65
	v_mul_f16_e32 v186, 0xb853, v183
	;; [unrolled: 1-line block ×10, first 2 shown]
	v_add_f16_e32 v59, v59, v185
	v_fma_f16 v185, v61, s6, -v184
	v_fma_f16 v187, v63, s6, v186
	v_fma_f16 v184, v61, s6, v184
	v_fma_f16 v186, v63, s6, -v186
	v_fma_f16 v189, v61, s5, -v188
	v_fma_f16 v191, v63, s5, v190
	v_fma_f16 v188, v61, s5, v188
	v_fma_f16 v190, v63, s5, -v190
	;; [unrolled: 4-line block ×5, first 2 shown]
	v_add_f16_e32 v65, v180, v182
	v_sub_f16_e32 v180, v180, v182
	v_add_f16_e32 v185, v37, v185
	v_add_f16_sdwa v187, v37, v187 dst_sel:DWORD dst_unused:UNUSED_PAD src0_sel:WORD_1 src1_sel:DWORD
	v_add_f16_e32 v184, v37, v184
	v_add_f16_sdwa v186, v37, v186 dst_sel:DWORD dst_unused:UNUSED_PAD src0_sel:WORD_1 src1_sel:DWORD
	;; [unrolled: 2-line block ×10, first 2 shown]
	v_add_f16_e32 v63, v179, v181
	v_sub_f16_e32 v179, v179, v181
	v_mul_f16_e32 v181, 0xbb47, v180
	v_fma_f16 v182, v63, s5, -v181
	v_mul_f16_e32 v183, 0xbb47, v179
	v_fma_f16 v181, v63, s5, v181
	v_add_f16_e32 v182, v182, v185
	v_fma_f16 v185, v65, s5, v183
	v_add_f16_e32 v181, v181, v184
	v_fma_f16 v183, v65, s5, -v183
	v_mul_f16_e32 v184, 0xba0c, v180
	v_add_f16_e32 v185, v185, v187
	v_add_f16_e32 v183, v183, v186
	v_fma_f16 v186, v63, s7, -v184
	v_mul_f16_e32 v187, 0xba0c, v179
	v_fma_f16 v184, v63, s7, v184
	v_add_f16_e32 v186, v186, v189
	v_fma_f16 v189, v65, s7, v187
	v_add_f16_e32 v184, v184, v188
	v_fma_f16 v187, v65, s7, -v187
	v_mul_f16_e32 v188, 0x3482, v180
	v_add_f16_e32 v189, v189, v191
	v_add_f16_e32 v187, v187, v190
	v_fma_f16 v190, v63, s16, -v188
	v_mul_f16_e32 v191, 0x3482, v179
	v_fma_f16 v188, v63, s16, v188
	v_add_f16_e32 v190, v190, v193
	v_fma_f16 v193, v65, s16, v191
	v_add_f16_e32 v188, v188, v192
	v_fma_f16 v191, v65, s16, -v191
	v_mul_f16_e32 v192, 0x3beb, v180
	v_add_f16_e32 v193, v193, v195
	v_add_f16_e32 v191, v191, v194
	v_fma_f16 v194, v63, s4, -v192
	v_mul_f16_e32 v195, 0x3beb, v179
	v_fma_f16 v192, v63, s4, v192
	v_mul_f16_e32 v180, 0x3853, v180
	v_add_f16_e32 v194, v194, v197
	v_fma_f16 v197, v65, s4, v195
	v_add_f16_e32 v192, v192, v196
	v_fma_f16 v195, v65, s4, -v195
	v_fma_f16 v196, v63, s6, -v180
	v_mul_f16_e32 v179, 0x3853, v179
	v_fma_f16 v63, v63, s6, v180
	v_add_f16_e32 v195, v195, v198
	v_fma_f16 v198, v65, s6, v179
	v_add_f16_e32 v61, v63, v61
	v_fma_f16 v63, v65, s6, -v179
	v_add_f16_e32 v65, v135, v67
	v_sub_f16_e32 v67, v135, v67
	v_add_f16_e32 v37, v63, v37
	v_add_f16_e32 v63, v134, v136
	v_mul_f16_e32 v135, 0xbbeb, v67
	v_sub_f16_e32 v134, v134, v136
	v_fma_f16 v136, v63, s4, -v135
	v_fma_f16 v135, v63, s4, v135
	v_mul_f16_e32 v179, 0xbbeb, v134
	v_add_f16_e32 v135, v135, v181
	v_mul_f16_e32 v181, 0x3482, v67
	v_add_f16_e32 v136, v136, v182
	v_fma_f16 v180, v65, s4, v179
	v_fma_f16 v179, v65, s4, -v179
	v_fma_f16 v182, v63, s16, -v181
	v_fma_f16 v181, v63, s16, v181
	v_add_f16_e32 v179, v179, v183
	v_mul_f16_e32 v183, 0x3482, v134
	v_add_f16_e32 v181, v181, v184
	v_mul_f16_e32 v184, 0x3b47, v67
	v_add_f16_e32 v180, v180, v185
	v_add_f16_e32 v182, v182, v186
	v_fma_f16 v185, v65, s16, v183
	v_fma_f16 v183, v65, s16, -v183
	v_fma_f16 v186, v63, s5, -v184
	v_fma_f16 v184, v63, s5, v184
	v_add_f16_e32 v183, v183, v187
	v_mul_f16_e32 v187, 0x3b47, v134
	v_add_f16_e32 v184, v184, v188
	v_mul_f16_e32 v188, 0xb853, v67
	v_add_f16_e32 v185, v185, v189
	v_add_f16_e32 v186, v186, v190
	v_fma_f16 v189, v65, s5, v187
	v_fma_f16 v187, v65, s5, -v187
	v_fma_f16 v190, v63, s6, -v188
	v_fma_f16 v188, v63, s6, v188
	v_mul_f16_e32 v67, 0xba0c, v67
	v_add_f16_e32 v187, v187, v191
	v_mul_f16_e32 v191, 0xb853, v134
	v_add_f16_e32 v188, v188, v192
	v_fma_f16 v192, v63, s7, -v67
	v_mul_f16_e32 v134, 0xba0c, v134
	v_fma_f16 v63, v63, s7, v67
	v_add_f16_e32 v61, v63, v61
	v_fma_f16 v63, v65, s7, -v134
	v_add_f16_e32 v37, v63, v37
	v_add_f16_e32 v63, v119, v121
	v_sub_f16_e32 v67, v119, v121
	v_sub_f16_e32 v119, v120, v132
	v_add_f16_e32 v189, v189, v193
	v_add_f16_e32 v190, v190, v194
	v_fma_f16 v193, v65, s6, v191
	v_fma_f16 v191, v65, s6, -v191
	v_fma_f16 v194, v65, s7, v134
	v_add_f16_e32 v65, v120, v132
	v_mul_f16_e32 v120, 0xba0c, v119
	v_fma_f16 v121, v63, s7, -v120
	v_fma_f16 v120, v63, s7, v120
	v_mul_f16_e32 v132, 0xba0c, v67
	v_add_f16_e32 v120, v120, v135
	v_mul_f16_e32 v135, 0x3beb, v119
	v_add_f16_e32 v121, v121, v136
	v_fma_f16 v134, v65, s7, v132
	v_fma_f16 v132, v65, s7, -v132
	v_fma_f16 v136, v63, s4, -v135
	v_fma_f16 v135, v63, s4, v135
	v_add_f16_e32 v132, v132, v179
	v_mul_f16_e32 v179, 0x3beb, v67
	v_add_f16_e32 v135, v135, v181
	v_mul_f16_e32 v181, 0xb853, v119
	v_add_f16_e32 v134, v134, v180
	v_add_f16_e32 v136, v136, v182
	v_fma_f16 v180, v65, s4, v179
	v_fma_f16 v179, v65, s4, -v179
	v_fma_f16 v182, v63, s6, -v181
	v_fma_f16 v181, v63, s6, v181
	v_add_f16_e32 v179, v179, v183
	v_mul_f16_e32 v183, 0xb853, v67
	v_add_f16_e32 v181, v181, v184
	v_mul_f16_e32 v184, 0xb482, v119
	v_add_f16_e32 v180, v180, v185
	v_add_f16_e32 v182, v182, v186
	v_fma_f16 v185, v65, s6, v183
	v_fma_f16 v183, v65, s6, -v183
	v_fma_f16 v186, v63, s16, -v184
	v_fma_f16 v184, v63, s16, v184
	v_mul_f16_e32 v119, 0x3b47, v119
	v_add_f16_e32 v196, v196, v200
	v_add_f16_e32 v198, v198, v201
	v_add_f16_e32 v183, v183, v187
	v_mul_f16_e32 v187, 0xb482, v67
	v_add_f16_e32 v184, v184, v188
	v_fma_f16 v188, v63, s5, -v119
	v_mul_f16_e32 v67, 0x3b47, v67
	v_fma_f16 v63, v63, s5, v119
	v_add_f16_e32 v192, v192, v196
	v_add_f16_e32 v194, v194, v198
	;; [unrolled: 1-line block ×3, first 2 shown]
	v_fma_f16 v61, v65, s5, -v67
	v_sub_f16_e32 v198, v64, v118
	v_add_f16_e32 v188, v188, v192
	v_add_f16_e32 v192, v61, v37
	;; [unrolled: 1-line block ×3, first 2 shown]
	v_mul_f16_e32 v37, 0xb482, v198
	v_add_f16_e32 v197, v197, v199
	v_sub_f16_e32 v62, v62, v66
	v_fma_f16 v61, v196, s16, -v37
	v_add_f16_e32 v193, v193, v197
	v_add_f16_e32 v197, v64, v118
	;; [unrolled: 1-line block ×3, first 2 shown]
	v_mul_f16_e32 v61, 0xb482, v62
	v_fma_f16 v64, v197, s16, v61
	v_add_f16_e32 v56, v56, v203
	v_add_f16_e32 v203, v64, v134
	v_mul_f16_e32 v64, 0x3853, v198
	v_add_f16_e32 v191, v191, v195
	v_add_f16_e32 v185, v185, v189
	;; [unrolled: 1-line block ×3, first 2 shown]
	v_fma_f16 v189, v65, s16, v187
	v_fma_f16 v187, v65, s16, -v187
	v_fma_f16 v190, v65, s5, v67
	v_fma_f16 v65, v196, s6, -v64
	v_add_f16_e32 v187, v187, v191
	v_add_f16_e32 v191, v190, v194
	;; [unrolled: 1-line block ×3, first 2 shown]
	v_mul_f16_e32 v65, 0x3853, v62
	v_fma_f16 v66, v197, s6, v65
	v_add_f16_e32 v189, v189, v193
	v_add_f16_e32 v193, v66, v180
	v_mul_f16_e32 v66, 0xba0c, v198
	v_fma_f16 v67, v196, s7, -v66
	v_add_f16_e32 v194, v67, v182
	v_mul_f16_e32 v67, 0xba0c, v62
	v_fma_f16 v118, v197, s7, v67
	v_add_f16_e32 v195, v118, v185
	v_mul_f16_e32 v118, 0x3b47, v198
	v_fma_f16 v61, v197, s16, -v61
	v_fma_f16 v119, v196, s5, -v118
	v_fma_f16 v37, v196, s16, v37
	v_add_f16_e32 v61, v61, v132
	v_add_f16_e32 v132, v119, v186
	v_mul_f16_e32 v119, 0x3b47, v62
	v_add_f16_e32 v37, v37, v120
	v_fma_f16 v120, v197, s5, v119
	v_add_f16_e32 v134, v120, v189
	v_mul_f16_e32 v120, 0xbbeb, v198
	v_fma_f16 v64, v196, s6, v64
	v_fma_f16 v121, v196, s4, -v120
	v_mul_f16_e32 v62, 0xbbeb, v62
	v_fma_f16 v120, v196, s4, v120
	v_add_f16_e32 v64, v64, v135
	v_add_f16_e32 v135, v121, v188
	v_fma_f16 v121, v197, s4, v62
	v_add_f16_e32 v120, v120, v63
	v_fma_f16 v62, v197, s4, -v62
	v_add_f16_sdwa v63, v34, v133 dst_sel:DWORD dst_unused:UNUSED_PAD src0_sel:WORD_1 src1_sel:DWORD
	v_add_f16_e32 v136, v121, v191
	v_add_f16_e32 v121, v62, v192
	;; [unrolled: 1-line block ×14, first 2 shown]
	v_fma_f16 v65, v197, s6, -v65
	v_add_f16_e32 v62, v62, v103
	v_add_f16_e32 v63, v63, v127
	;; [unrolled: 1-line block ×3, first 2 shown]
	v_fma_f16 v66, v196, s7, v66
	v_fma_f16 v67, v197, s7, -v67
	v_fma_f16 v119, v197, s5, -v119
	v_add_f16_e32 v62, v62, v126
	v_add_f16_e32 v63, v63, v131
	;; [unrolled: 1-line block ×4, first 2 shown]
	v_sub_f16_e32 v137, v137, v178
	v_sub_f16_e32 v133, v133, v138
	v_add_f16_e32 v66, v66, v181
	v_add_f16_e32 v67, v67, v183
	v_fma_f16 v118, v196, s5, v118
	v_add_f16_e32 v119, v119, v187
	v_add_f16_e32 v62, v62, v130
	;; [unrolled: 1-line block ×3, first 2 shown]
	v_mul_f16_e32 v138, 0xb853, v133
	v_mul_f16_e32 v181, 0xb853, v137
	;; [unrolled: 1-line block ×10, first 2 shown]
	v_add_f16_e32 v118, v118, v184
	v_add_f16_e32 v62, v62, v178
	v_fma_f16 v178, v179, s6, -v138
	v_fma_f16 v182, v180, s6, v181
	v_fma_f16 v138, v179, s6, v138
	v_fma_f16 v181, v180, s6, -v181
	v_fma_f16 v184, v179, s5, -v183
	v_fma_f16 v186, v180, s5, v185
	v_fma_f16 v183, v179, s5, v183
	v_fma_f16 v185, v180, s5, -v185
	;; [unrolled: 4-line block ×5, first 2 shown]
	v_add_f16_e32 v179, v129, v131
	v_sub_f16_e32 v129, v129, v131
	v_add_f16_e32 v178, v34, v178
	v_add_f16_sdwa v182, v34, v182 dst_sel:DWORD dst_unused:UNUSED_PAD src0_sel:WORD_1 src1_sel:DWORD
	v_add_f16_e32 v138, v34, v138
	v_add_f16_sdwa v181, v34, v181 dst_sel:DWORD dst_unused:UNUSED_PAD src0_sel:WORD_1 src1_sel:DWORD
	;; [unrolled: 2-line block ×10, first 2 shown]
	v_add_f16_e32 v137, v128, v130
	v_sub_f16_e32 v128, v128, v130
	v_mul_f16_e32 v130, 0xbb47, v129
	v_fma_f16 v131, v137, s5, -v130
	v_add_f16_e32 v131, v131, v178
	v_mul_f16_e32 v178, 0xbb47, v128
	v_fma_f16 v130, v137, s5, v130
	v_fma_f16 v180, v179, s5, v178
	v_add_f16_e32 v130, v130, v138
	v_fma_f16 v138, v179, s5, -v178
	v_mul_f16_e32 v178, 0xba0c, v129
	v_add_f16_e32 v180, v180, v182
	v_add_f16_e32 v138, v138, v181
	v_fma_f16 v181, v137, s7, -v178
	v_mul_f16_e32 v182, 0xba0c, v128
	v_fma_f16 v178, v137, s7, v178
	v_add_f16_e32 v181, v181, v184
	v_fma_f16 v184, v179, s7, v182
	v_add_f16_e32 v178, v178, v183
	v_fma_f16 v182, v179, s7, -v182
	v_mul_f16_e32 v183, 0x3482, v129
	v_add_f16_e32 v184, v184, v186
	v_add_f16_e32 v182, v182, v185
	v_fma_f16 v185, v137, s16, -v183
	v_mul_f16_e32 v186, 0x3482, v128
	v_fma_f16 v183, v137, s16, v183
	v_add_f16_e32 v185, v185, v188
	v_fma_f16 v188, v179, s16, v186
	v_add_f16_e32 v183, v183, v187
	v_fma_f16 v186, v179, s16, -v186
	v_mul_f16_e32 v187, 0x3beb, v129
	v_add_f16_e32 v188, v188, v191
	v_add_f16_e32 v186, v186, v189
	v_fma_f16 v189, v137, s4, -v187
	v_mul_f16_e32 v191, 0x3beb, v128
	v_fma_f16 v187, v137, s4, v187
	v_mul_f16_e32 v129, 0x3853, v129
	v_add_f16_e32 v189, v189, v196
	v_fma_f16 v196, v179, s4, v191
	v_add_f16_e32 v187, v187, v192
	v_fma_f16 v191, v179, s4, -v191
	v_fma_f16 v192, v137, s6, -v129
	v_mul_f16_e32 v128, 0x3853, v128
	v_fma_f16 v129, v137, s6, v129
	v_add_f16_e32 v191, v191, v197
	v_fma_f16 v197, v179, s6, v128
	v_add_f16_e32 v129, v129, v133
	v_fma_f16 v128, v179, s6, -v128
	v_add_f16_e32 v133, v125, v127
	v_sub_f16_e32 v125, v125, v127
	v_add_f16_e32 v34, v128, v34
	v_add_f16_e32 v128, v124, v126
	v_sub_f16_e32 v124, v124, v126
	v_mul_f16_e32 v126, 0xbbeb, v125
	v_fma_f16 v127, v128, s4, -v126
	v_add_f16_e32 v127, v127, v131
	v_mul_f16_e32 v131, 0xbbeb, v124
	v_fma_f16 v126, v128, s4, v126
	v_fma_f16 v137, v133, s4, v131
	v_add_f16_e32 v126, v126, v130
	v_fma_f16 v130, v133, s4, -v131
	v_mul_f16_e32 v131, 0x3482, v125
	v_add_f16_e32 v130, v130, v138
	v_fma_f16 v138, v128, s16, -v131
	v_mul_f16_e32 v179, 0x3482, v124
	v_fma_f16 v131, v128, s16, v131
	v_add_f16_e32 v137, v137, v180
	v_fma_f16 v180, v133, s16, v179
	v_add_f16_e32 v131, v131, v178
	v_fma_f16 v178, v133, s16, -v179
	v_mul_f16_e32 v179, 0x3b47, v125
	v_add_f16_e32 v138, v138, v181
	v_add_f16_e32 v178, v178, v182
	v_fma_f16 v181, v128, s5, -v179
	v_mul_f16_e32 v182, 0x3b47, v124
	v_fma_f16 v179, v128, s5, v179
	v_add_f16_e32 v180, v180, v184
	v_fma_f16 v184, v133, s5, v182
	v_add_f16_e32 v179, v179, v183
	v_fma_f16 v182, v133, s5, -v182
	v_mul_f16_e32 v183, 0xb853, v125
	v_add_f16_e32 v181, v181, v185
	v_add_f16_e32 v182, v182, v186
	v_fma_f16 v185, v128, s6, -v183
	v_mul_f16_e32 v186, 0xb853, v124
	v_fma_f16 v183, v128, s6, v183
	v_mul_f16_e32 v125, 0xba0c, v125
	v_mul_f16_e32 v124, 0xba0c, v124
	v_add_f16_e32 v185, v185, v189
	v_add_f16_e32 v183, v183, v187
	v_fma_f16 v187, v128, s7, -v125
	v_fma_f16 v189, v133, s7, v124
	v_fma_f16 v125, v128, s7, v125
	v_fma_f16 v124, v133, s7, -v124
	v_add_f16_e32 v128, v102, v104
	v_sub_f16_e32 v102, v102, v104
	v_add_f16_e32 v34, v124, v34
	v_add_f16_e32 v124, v101, v103
	v_sub_f16_e32 v101, v101, v103
	v_mul_f16_e32 v103, 0xba0c, v102
	v_fma_f16 v104, v124, s7, -v103
	v_add_f16_e32 v104, v104, v127
	v_mul_f16_e32 v127, 0xba0c, v101
	v_fma_f16 v103, v124, s7, v103
	v_add_f16_e32 v125, v125, v129
	v_fma_f16 v129, v128, s7, v127
	v_add_f16_e32 v103, v103, v126
	v_fma_f16 v126, v128, s7, -v127
	v_mul_f16_e32 v127, 0x3beb, v102
	v_add_f16_e32 v184, v184, v188
	v_fma_f16 v188, v133, s6, v186
	v_fma_f16 v186, v133, s6, -v186
	v_add_f16_e32 v126, v126, v130
	v_fma_f16 v130, v124, s4, -v127
	v_mul_f16_e32 v133, 0x3beb, v101
	v_fma_f16 v127, v124, s4, v127
	v_add_f16_e32 v129, v129, v137
	v_fma_f16 v137, v128, s4, v133
	v_add_f16_e32 v127, v127, v131
	v_fma_f16 v131, v128, s4, -v133
	v_mul_f16_e32 v133, 0xb853, v102
	v_add_f16_e32 v130, v130, v138
	v_fma_f16 v138, v124, s6, -v133
	v_fma_f16 v133, v124, s6, v133
	v_add_f16_e32 v131, v131, v178
	v_mul_f16_e32 v178, 0xb853, v101
	v_add_f16_e32 v133, v133, v179
	v_mul_f16_e32 v179, 0xb482, v102
	v_add_f16_e32 v192, v192, v199
	v_add_f16_e32 v137, v137, v180
	;; [unrolled: 1-line block ×3, first 2 shown]
	v_fma_f16 v180, v128, s6, v178
	v_fma_f16 v178, v128, s6, -v178
	v_fma_f16 v181, v124, s16, -v179
	v_fma_f16 v179, v124, s16, v179
	v_mul_f16_e32 v102, 0x3b47, v102
	v_add_f16_e32 v187, v187, v192
	v_add_f16_e32 v178, v178, v182
	v_mul_f16_e32 v182, 0xb482, v101
	v_add_f16_e32 v179, v179, v183
	v_fma_f16 v183, v124, s5, -v102
	v_mul_f16_e32 v101, 0x3b47, v101
	v_add_f16_e32 v186, v186, v191
	v_add_f16_e32 v180, v180, v184
	;; [unrolled: 1-line block ×3, first 2 shown]
	v_fma_f16 v184, v128, s16, v182
	v_fma_f16 v182, v128, s16, -v182
	v_add_f16_e32 v183, v183, v187
	v_fma_f16 v185, v128, s5, v101
	v_fma_f16 v101, v128, s5, -v101
	v_add_f16_e32 v187, v98, v100
	v_sub_f16_e32 v98, v98, v100
	v_add_f16_e32 v182, v182, v186
	v_add_f16_e32 v101, v101, v34
	;; [unrolled: 1-line block ×3, first 2 shown]
	v_mul_f16_e32 v34, 0xb482, v98
	v_sub_f16_e32 v97, v97, v99
	v_fma_f16 v99, v186, s16, -v34
	v_add_f16_e32 v197, v197, v200
	v_add_f16_e32 v200, v99, v104
	v_mul_f16_e32 v99, 0xb482, v97
	v_fma_f16 v100, v187, s16, v99
	v_fma_f16 v99, v187, s16, -v99
	v_fma_f16 v102, v124, s5, v102
	v_add_f16_e32 v124, v99, v126
	v_mul_f16_e32 v99, 0x3853, v98
	v_add_f16_e32 v196, v196, v198
	v_add_f16_e32 v201, v100, v129
	v_fma_f16 v100, v186, s6, -v99
	v_add_f16_e32 v188, v188, v196
	v_add_f16_e32 v196, v100, v130
	v_mul_f16_e32 v100, 0x3853, v97
	v_fma_f16 v99, v186, s6, v99
	v_add_f16_e32 v102, v102, v125
	v_add_f16_e32 v125, v99, v127
	v_fma_f16 v99, v187, s6, -v100
	v_fma_f16 v34, v186, s16, v34
	v_add_f16_e32 v126, v99, v131
	v_mul_f16_e32 v99, 0xba0c, v98
	v_add_f16_e32 v34, v34, v103
	v_fma_f16 v103, v187, s6, v100
	v_fma_f16 v100, v186, s7, -v99
	v_add_f16_e32 v198, v100, v138
	v_mul_f16_e32 v100, 0xba0c, v97
	v_fma_f16 v99, v186, s7, v99
	v_add_f16_e32 v127, v99, v133
	v_fma_f16 v99, v187, s7, -v100
	v_add_f16_e32 v128, v99, v178
	v_mul_f16_e32 v99, 0x3b47, v98
	v_add_f16_e32 v189, v189, v197
	v_add_f16_e32 v197, v103, v137
	v_fma_f16 v103, v187, s7, v100
	v_fma_f16 v100, v186, s5, -v99
	v_add_f16_e32 v137, v100, v181
	v_mul_f16_e32 v100, 0x3b47, v97
	v_fma_f16 v99, v186, s5, v99
	v_add_f16_e32 v129, v99, v179
	v_fma_f16 v99, v187, s5, -v100
	v_mul_f16_e32 v98, 0xbbeb, v98
	v_add_f16_e32 v130, v99, v182
	v_fma_f16 v99, v186, s4, -v98
	v_mul_f16_e32 v97, 0xbbeb, v97
	v_fma_f16 v98, v186, s4, v98
	v_add_f16_e32 v191, v99, v183
	v_fma_f16 v99, v187, s4, v97
	v_add_f16_e32 v131, v98, v102
	v_fma_f16 v97, v187, s4, -v97
	v_sub_f16_e32 v98, v33, v52
	v_add_f16_e32 v57, v57, v204
	v_add_f16_e32 v185, v185, v189
	v_add_f16_e32 v133, v97, v101
	v_add_f16_e32 v206, v39, v53
	v_sub_f16_e32 v97, v39, v53
	v_mul_f16_e32 v204, 0xb853, v98
	v_sub_f16_e32 v189, v35, v49
	v_add_f16_e32 v184, v184, v188
	v_add_f16_e32 v192, v99, v185
	;; [unrolled: 1-line block ×3, first 2 shown]
	v_mul_f16_e32 v205, 0xb853, v97
	v_fma_f16 v99, v206, s6, v204
	v_add_f16_e32 v210, v41, v55
	v_sub_f16_e32 v188, v41, v55
	v_mul_f16_e32 v208, 0xbb47, v189
	v_add_f16_e32 v199, v103, v180
	v_fma_f16 v103, v187, s5, v100
	v_add_f16_e32 v99, v32, v99
	v_fma_f16 v100, v207, s6, -v205
	v_add_f16_e32 v211, v35, v49
	v_mul_f16_e32 v209, 0xbb47, v188
	v_fma_f16 v212, v210, s5, v208
	v_add_f16_e32 v100, v74, v100
	v_mul_f16_e32 v101, 0xbb47, v98
	v_add_f16_e32 v99, v212, v99
	v_fma_f16 v212, v211, s5, -v209
	v_fma_f16 v102, v206, s5, -v101
	v_add_f16_e32 v100, v212, v100
	v_mul_f16_e32 v212, 0xba0c, v189
	v_add_f16_e32 v138, v103, v184
	v_add_f16_e32 v102, v32, v102
	v_mul_f16_e32 v103, 0xbb47, v97
	v_fma_f16 v101, v206, s5, v101
	v_fma_f16 v213, v210, s7, -v212
	v_fma_f16 v104, v207, s5, v103
	v_add_f16_e32 v101, v32, v101
	v_fma_f16 v103, v207, s5, -v103
	v_add_f16_e32 v102, v213, v102
	v_mul_f16_e32 v213, 0xba0c, v188
	v_fma_f16 v212, v210, s7, v212
	v_add_f16_e32 v103, v74, v103
	v_mul_f16_e32 v178, 0xbbeb, v98
	v_add_f16_e32 v101, v212, v101
	v_fma_f16 v212, v211, s7, -v213
	v_fma_f16 v179, v206, s4, -v178
	v_add_f16_e32 v103, v212, v103
	v_mul_f16_e32 v212, 0x3482, v189
	v_add_f16_e32 v179, v32, v179
	v_mul_f16_e32 v180, 0xbbeb, v97
	v_fma_f16 v178, v206, s4, v178
	v_fma_f16 v214, v211, s7, v213
	v_fma_f16 v213, v210, s16, -v212
	v_fma_f16 v181, v207, s4, v180
	v_add_f16_e32 v178, v32, v178
	v_fma_f16 v180, v207, s4, -v180
	v_add_f16_e32 v179, v213, v179
	v_mul_f16_e32 v213, 0x3482, v188
	v_fma_f16 v212, v210, s16, v212
	v_add_f16_e32 v180, v74, v180
	v_mul_f16_e32 v182, 0xba0c, v98
	v_add_f16_e32 v178, v212, v178
	v_fma_f16 v212, v211, s16, -v213
	v_add_f16_e32 v104, v74, v104
	v_fma_f16 v183, v206, s7, -v182
	v_add_f16_e32 v180, v212, v180
	v_mul_f16_e32 v212, 0x3beb, v189
	v_add_f16_e32 v183, v32, v183
	v_mul_f16_e32 v184, 0xba0c, v97
	v_fma_f16 v182, v206, s7, v182
	v_add_f16_e32 v104, v214, v104
	v_fma_f16 v214, v211, s16, v213
	v_fma_f16 v213, v210, s4, -v212
	v_fma_f16 v185, v207, s7, v184
	v_add_f16_e32 v182, v32, v182
	v_fma_f16 v184, v207, s7, -v184
	v_mul_f16_e32 v98, 0xb482, v98
	v_add_f16_e32 v183, v213, v183
	v_mul_f16_e32 v213, 0x3beb, v188
	v_fma_f16 v212, v210, s4, v212
	v_add_f16_e32 v184, v74, v184
	v_fma_f16 v186, v206, s16, -v98
	v_mul_f16_e32 v97, 0xb482, v97
	v_fma_f16 v98, v206, s16, v98
	v_add_f16_e32 v182, v212, v182
	v_fma_f16 v212, v211, s4, -v213
	v_mul_f16_e32 v189, 0x3853, v189
	v_add_f16_e32 v181, v74, v181
	v_add_f16_e32 v186, v32, v186
	v_fma_f16 v187, v207, s16, v97
	v_add_f16_e32 v98, v32, v98
	v_fma_f16 v97, v207, s16, -v97
	v_add_f16_e32 v184, v212, v184
	v_fma_f16 v212, v210, s6, -v189
	v_mul_f16_e32 v188, 0x3853, v188
	v_fma_f16 v189, v210, s6, v189
	v_add_f16_e32 v185, v74, v185
	v_add_f16_e32 v187, v74, v187
	;; [unrolled: 1-line block ×4, first 2 shown]
	v_fma_f16 v214, v211, s4, v213
	v_add_f16_e32 v186, v212, v186
	v_fma_f16 v212, v211, s6, v188
	v_add_f16_e32 v98, v189, v98
	v_fma_f16 v188, v211, s6, -v188
	v_sub_f16_e32 v189, v38, v48
	v_add_f16_e32 v185, v214, v185
	v_add_f16_e32 v187, v212, v187
	;; [unrolled: 1-line block ×4, first 2 shown]
	v_sub_f16_e32 v188, v43, v54
	v_mul_f16_e32 v212, 0xbbeb, v189
	v_add_f16_e32 v215, v38, v48
	v_mul_f16_e32 v213, 0xbbeb, v188
	v_fma_f16 v216, v214, s4, v212
	v_add_f16_e32 v99, v216, v99
	v_fma_f16 v216, v215, s4, -v213
	v_add_f16_e32 v100, v216, v100
	v_mul_f16_e32 v216, 0x3482, v189
	v_fma_f16 v217, v214, s16, -v216
	v_add_f16_e32 v102, v217, v102
	v_mul_f16_e32 v217, 0x3482, v188
	v_fma_f16 v216, v214, s16, v216
	v_add_f16_e32 v101, v216, v101
	v_fma_f16 v216, v215, s16, -v217
	v_add_f16_e32 v103, v216, v103
	v_mul_f16_e32 v216, 0x3b47, v189
	v_fma_f16 v218, v215, s16, v217
	v_fma_f16 v217, v214, s5, -v216
	v_add_f16_e32 v179, v217, v179
	v_mul_f16_e32 v217, 0x3b47, v188
	v_fma_f16 v216, v214, s5, v216
	v_add_f16_e32 v178, v216, v178
	v_fma_f16 v216, v215, s5, -v217
	v_add_f16_e32 v180, v216, v180
	v_mul_f16_e32 v216, 0xb853, v189
	v_add_f16_e32 v104, v218, v104
	v_fma_f16 v218, v215, s5, v217
	v_fma_f16 v217, v214, s6, -v216
	v_add_f16_e32 v183, v217, v183
	v_mul_f16_e32 v217, 0xb853, v188
	v_fma_f16 v216, v214, s6, v216
	v_add_f16_e32 v182, v216, v182
	v_fma_f16 v216, v215, s6, -v217
	v_mul_f16_e32 v189, 0xba0c, v189
	v_add_f16_e32 v184, v216, v184
	v_fma_f16 v216, v214, s7, -v189
	v_mul_f16_e32 v188, 0xba0c, v188
	v_fma_f16 v189, v214, s7, v189
	v_add_f16_e32 v181, v218, v181
	v_fma_f16 v218, v215, s6, v217
	v_add_f16_e32 v186, v216, v186
	v_fma_f16 v216, v215, s7, v188
	v_add_f16_e32 v98, v189, v98
	v_fma_f16 v188, v215, s7, -v188
	v_sub_f16_e32 v189, v40, v46
	v_add_f16_e32 v185, v218, v185
	v_add_f16_e32 v187, v216, v187
	;; [unrolled: 1-line block ×4, first 2 shown]
	v_sub_f16_e32 v188, v45, v51
	v_mul_f16_e32 v216, 0xba0c, v189
	v_add_f16_e32 v219, v40, v46
	v_mul_f16_e32 v217, 0xba0c, v188
	v_fma_f16 v220, v218, s7, v216
	v_add_f16_e32 v99, v220, v99
	v_fma_f16 v220, v219, s7, -v217
	v_add_f16_e32 v100, v220, v100
	v_mul_f16_e32 v220, 0x3beb, v189
	v_fma_f16 v221, v218, s4, -v220
	v_add_f16_e32 v102, v221, v102
	v_mul_f16_e32 v221, 0x3beb, v188
	v_fma_f16 v220, v218, s4, v220
	v_add_f16_e32 v101, v220, v101
	v_fma_f16 v220, v219, s4, -v221
	v_add_f16_e32 v103, v220, v103
	v_mul_f16_e32 v220, 0xb853, v189
	v_fma_f16 v222, v219, s4, v221
	v_fma_f16 v221, v218, s6, -v220
	v_add_f16_e32 v179, v221, v179
	v_mul_f16_e32 v221, 0xb853, v188
	v_add_f16_e32 v104, v222, v104
	v_fma_f16 v222, v219, s6, v221
	v_add_f16_e32 v224, v222, v181
	v_fma_f16 v181, v218, s6, v220
	v_add_f16_e32 v225, v181, v178
	v_fma_f16 v178, v219, s6, -v221
	v_add_f16_e32 v226, v178, v180
	v_mul_f16_e32 v178, 0xb482, v189
	v_fma_f16 v180, v218, s16, -v178
	v_add_f16_e32 v227, v180, v183
	v_mul_f16_e32 v180, 0xb482, v188
	v_fma_f16 v178, v218, s16, v178
	v_add_f16_e32 v228, v178, v182
	v_fma_f16 v178, v219, s16, -v180
	v_add_f16_e32 v229, v178, v184
	v_mul_f16_e32 v178, 0x3b47, v189
	v_fma_f16 v181, v219, s16, v180
	v_fma_f16 v180, v218, s5, -v178
	v_add_f16_e32 v186, v180, v186
	v_mul_f16_e32 v180, 0x3b47, v188
	v_fma_f16 v178, v218, s5, v178
	v_sub_f16_e32 v231, v42, v44
	v_add_f16_e32 v188, v178, v98
	v_fma_f16 v98, v219, s5, -v180
	v_add_f16_e32 v222, v47, v50
	v_sub_f16_e32 v230, v47, v50
	v_mul_f16_e32 v220, 0xb482, v231
	v_add_f16_e32 v189, v98, v97
	v_add_f16_e32 v223, v42, v44
	v_mul_f16_e32 v221, 0xb482, v230
	v_fma_f16 v97, v222, s16, v220
	v_add_f16_e32 v185, v181, v185
	v_fma_f16 v181, v219, s5, v180
	v_add_f16_e32 v180, v97, v99
	v_fma_f16 v97, v223, s16, -v221
	v_mul_f16_e32 v98, 0x3853, v231
	v_mul_f16_e32 v99, 0x3853, v230
	v_add_f16_e32 v187, v181, v187
	v_add_f16_e32 v181, v97, v100
	v_fma_f16 v97, v222, s6, -v98
	v_fma_f16 v100, v223, s6, v99
	v_fma_f16 v98, v222, s6, v98
	v_add_f16_e32 v178, v100, v104
	v_add_f16_e32 v100, v98, v101
	v_fma_f16 v98, v223, s6, -v99
	v_mul_f16_e32 v99, 0xba0c, v231
	v_mul_f16_e32 v101, 0xba0c, v230
	v_add_f16_e32 v97, v97, v102
	v_add_f16_e32 v182, v98, v103
	v_fma_f16 v98, v222, s7, -v99
	v_fma_f16 v102, v223, s7, v101
	v_add_f16_e32 v98, v98, v179
	v_add_f16_e32 v179, v102, v224
	v_fma_f16 v101, v223, s7, -v101
	v_mul_f16_e32 v102, 0x3b47, v231
	v_mul_f16_e32 v103, 0x3b47, v230
	v_add_f16_e32 v183, v101, v226
	v_fma_f16 v101, v222, s5, -v102
	v_fma_f16 v104, v223, s5, v103
	v_fma_f16 v102, v222, s5, v102
	v_add_f16_e32 v184, v104, v185
	v_add_f16_e32 v104, v102, v228
	v_fma_f16 v102, v223, s5, -v103
	v_mul_f16_e32 v103, 0xbbeb, v231
	v_add_f16_e32 v185, v102, v229
	v_fma_f16 v102, v222, s4, -v103
	v_fma_f16 v103, v222, s4, v103
	v_add_f16_e32 v103, v103, v188
	v_add_lshl_u32 v188, v80, v81, 2
	v_pack_b32_f16 v56, v56, v57
	v_pack_b32_f16 v57, v122, v123
	s_waitcnt lgkmcnt(0)
	; wave barrier
	ds_write2_b32 v188, v56, v57 offset1:7
	v_pack_b32_f16 v56, v114, v115
	v_pack_b32_f16 v57, v116, v117
	v_mul_f16_e32 v224, 0xbbeb, v230
	ds_write2_b32 v188, v56, v57 offset0:14 offset1:21
	v_pack_b32_f16 v56, v105, v106
	v_pack_b32_f16 v57, v112, v113
	v_add_f16_e32 v102, v102, v186
	v_fma_f16 v186, v223, s4, v224
	ds_write2_b32 v188, v56, v57 offset0:28 offset1:35
	v_pack_b32_f16 v56, v86, v87
	v_pack_b32_f16 v57, v84, v85
	;; [unrolled: 1-line block ×3, first 2 shown]
	v_add_f16_e32 v186, v186, v187
	v_fma_f16 v187, v223, s4, -v224
	ds_write2_b32 v188, v56, v57 offset0:42 offset1:49
	v_pack_b32_f16 v56, v82, v83
	v_pack_b32_f16 v57, v68, v69
	ds_write_b32 v188, v36 offset:280
	v_mul_u32_u24_e32 v36, 0x4d, v78
	v_add_f16_e32 v187, v187, v189
	ds_write2_b32 v188, v56, v57 offset0:56 offset1:63
	v_add_lshl_u32 v189, v36, v79, 2
	v_pack_b32_f16 v36, v59, v60
	v_pack_b32_f16 v56, v202, v203
	ds_write2_b32 v189, v36, v56 offset1:7
	v_pack_b32_f16 v36, v190, v193
	v_pack_b32_f16 v56, v194, v195
	ds_write2_b32 v189, v36, v56 offset0:14 offset1:21
	v_pack_b32_f16 v36, v132, v134
	v_pack_b32_f16 v56, v135, v136
	ds_write2_b32 v189, v36, v56 offset0:28 offset1:35
	;; [unrolled: 3-line block ×4, first 2 shown]
	v_pack_b32_f16 v36, v37, v61
	ds_write_b32 v189, v36 offset:280
	v_mul_u32_u24_e32 v36, 0x4d, v75
	v_add_lshl_u32 v190, v36, v77, 2
	v_pack_b32_f16 v36, v62, v63
	v_pack_b32_f16 v37, v200, v201
	ds_write2_b32 v190, v36, v37 offset1:7
	v_pack_b32_f16 v36, v196, v197
	v_pack_b32_f16 v37, v198, v199
	ds_write2_b32 v190, v36, v37 offset0:14 offset1:21
	v_pack_b32_f16 v36, v137, v138
	v_pack_b32_f16 v37, v191, v192
	v_fma_f16 v99, v222, s7, v99
	ds_write2_b32 v190, v36, v37 offset0:28 offset1:35
	v_pack_b32_f16 v36, v131, v133
	v_pack_b32_f16 v37, v129, v130
	v_add_f16_e32 v99, v99, v225
	v_add_f16_e32 v101, v101, v227
	ds_write2_b32 v190, v36, v37 offset0:42 offset1:49
	v_pack_b32_f16 v36, v127, v128
	v_pack_b32_f16 v37, v125, v126
	;; [unrolled: 1-line block ×3, first 2 shown]
	ds_write2_b32 v190, v36, v37 offset0:56 offset1:63
	ds_write_b32 v190, v34 offset:280
	s_and_saveexec_b64 s[4:5], s[0:1]
	s_cbranch_execz .LBB0_5
; %bb.4:
	v_add_f16_e32 v33, v74, v33
	v_add_f16_e32 v33, v33, v35
	buffer_load_dword v35, off, s[28:31], 0 ; 4-byte Folded Reload
	v_mul_f16_e32 v34, 0x3abb, v206
	v_sub_f16_e32 v34, v34, v204
	v_add_f16_e32 v34, v32, v34
	v_add_f16_e32 v32, v32, v39
	;; [unrolled: 1-line block ×5, first 2 shown]
	v_mul_f16_e32 v36, 0x3abb, v207
	v_add_f16_e32 v32, v32, v45
	v_add_f16_e32 v33, v33, v40
	v_mul_f16_e32 v37, 0x36a6, v210
	v_mul_f16_e32 v56, 0x36a6, v211
	v_add_f16_e32 v36, v205, v36
	v_add_f16_e32 v32, v32, v47
	;; [unrolled: 1-line block ×3, first 2 shown]
	v_mul_f16_e32 v57, 0xb08e, v214
	v_mul_f16_e32 v58, 0xb08e, v215
	v_add_f16_e32 v36, v74, v36
	v_add_f16_e32 v56, v209, v56
	v_sub_f16_e32 v37, v37, v208
	v_add_f16_e32 v32, v32, v50
	v_add_f16_e32 v33, v33, v44
	v_mul_f16_e32 v59, 0xb93d, v218
	v_mul_f16_e32 v60, 0xb93d, v219
	v_add_f16_e32 v36, v56, v36
	v_add_f16_e32 v56, v213, v58
	v_add_f16_e32 v34, v37, v34
	v_sub_f16_e32 v37, v57, v212
	v_add_f16_e32 v32, v32, v51
	v_add_f16_e32 v33, v33, v46
	v_mul_f16_e32 v61, 0xbbad, v222
	v_mul_f16_e32 v62, 0xbbad, v223
	v_add_f16_e32 v36, v56, v36
	v_add_f16_e32 v56, v217, v60
	;; [unrolled: 1-line block ×3, first 2 shown]
	v_sub_f16_e32 v37, v59, v216
	v_add_f16_e32 v32, v32, v54
	v_add_f16_e32 v33, v33, v48
	;; [unrolled: 1-line block ×5, first 2 shown]
	v_sub_f16_e32 v37, v61, v220
	v_add_f16_e32 v32, v32, v55
	v_add_f16_e32 v33, v33, v49
	;; [unrolled: 1-line block ×6, first 2 shown]
	v_pack_b32_f16 v32, v32, v33
	v_pack_b32_f16 v33, v34, v36
	s_mov_b32 s6, 0x5040100
	s_waitcnt vmcnt(0)
	v_mul_u32_u24_e32 v35, 0x4d, v35
	v_add_lshl_u32 v35, v35, v177, 2
	ds_write2_b32 v35, v32, v33 offset1:7
	v_perm_b32 v32, v178, v97, s6
	v_perm_b32 v33, v179, v98, s6
	ds_write2_b32 v35, v32, v33 offset0:14 offset1:21
	v_perm_b32 v32, v184, v101, s6
	v_perm_b32 v33, v186, v102, s6
	ds_write2_b32 v35, v32, v33 offset0:28 offset1:35
	;; [unrolled: 3-line block ×4, first 2 shown]
	v_perm_b32 v32, v181, v180, s6
	ds_write_b32 v35, v32 offset:280
.LBB0_5:
	s_or_b64 exec, exec, s[4:5]
	v_add_u32_e32 v113, 0x400, v139
	v_add_u32_e32 v119, 0xc00, v139
	;; [unrolled: 1-line block ×4, first 2 shown]
	v_lshlrev_b32_e32 v65, 4, v174
	s_waitcnt lgkmcnt(0)
	; wave barrier
	s_waitcnt lgkmcnt(0)
	ds_read2_b32 v[82:83], v139 offset1:55
	ds_read2_b32 v[60:61], v113 offset0:74 offset1:129
	ds_read2_b32 v[85:86], v119 offset0:2 offset1:57
	;; [unrolled: 1-line block ×5, first 2 shown]
	global_load_dwordx4 v[32:35], v65, s[14:15] offset:280
	s_movk_i32 s4, 0x14a
	v_add_co_u32_e32 v80, vcc, 0x113, v174
	v_add_co_u32_e32 v84, vcc, s4, v174
	s_movk_i32 s4, 0xffea
	v_add_co_u32_e32 v36, vcc, s4, v174
	v_addc_co_u32_e64 v37, s[4:5], 0, -1, vcc
	v_cmp_gt_u16_e32 vcc, 22, v174
	v_cndmask_b32_e32 v63, v37, v73, vcc
	v_cndmask_b32_e32 v62, v36, v70, vcc
	v_lshlrev_b64 v[36:37], 4, v[62:63]
	v_mov_b32_e32 v58, s15
	v_add_co_u32_e32 v36, vcc, s14, v36
	v_addc_co_u32_e32 v37, vcc, v58, v37, vcc
	global_load_dwordx4 v[36:39], v[36:37], off offset:280
	s_movk_i32 s4, 0xd5
	v_mul_lo_u16_sdwa v40, v71, s4 dst_sel:DWORD dst_unused:UNUSED_PAD src0_sel:BYTE_0 src1_sel:DWORD
	v_lshrrev_b16_e32 v66, 14, v40
	v_mul_lo_u16_e32 v40, 0x4d, v66
	v_sub_u16_e32 v40, v71, v40
	v_and_b32_e32 v67, 0xff, v40
	v_lshlrev_b32_e32 v40, 4, v67
	global_load_dwordx4 v[40:43], v40, s[14:15] offset:280
	v_mul_lo_u16_sdwa v44, v72, s4 dst_sel:DWORD dst_unused:UNUSED_PAD src0_sel:BYTE_0 src1_sel:DWORD
	v_lshrrev_b16_e32 v44, 14, v44
	v_mul_lo_u16_e32 v44, 0x4d, v44
	s_waitcnt lgkmcnt(4)
	v_lshrrev_b32_e32 v48, 16, v61
	v_sub_u16_e32 v68, v72, v44
	v_mov_b32_e32 v44, 4
	v_lshlrev_b32_sdwa v44, v44, v68 dst_sel:DWORD dst_unused:UNUSED_PAD src0_sel:DWORD src1_sel:BYTE_0
	global_load_dwordx4 v[44:47], v44, s[14:15] offset:280
	s_movk_i32 s4, 0x1a99
	s_waitcnt lgkmcnt(3)
	v_lshrrev_b32_e32 v52, 16, v85
	s_waitcnt lgkmcnt(2)
	v_lshrrev_b32_e32 v56, 16, v106
	;; [unrolled: 2-line block ×3, first 2 shown]
	ds_read2_b32 v[122:123], v112 offset0:186 offset1:241
	s_waitcnt lgkmcnt(1)
	v_lshrrev_b32_e32 v195, 16, v117
	v_lshrrev_b32_e32 v196, 16, v86
	ds_read2_b32 v[126:127], v119 offset0:112 offset1:167
	v_lshrrev_b32_e32 v201, 16, v116
	s_waitcnt lgkmcnt(1)
	v_lshrrev_b32_e32 v200, 16, v122
	v_lshrrev_b32_e32 v203, 16, v118
	ds_read2_b32 v[128:129], v197 offset0:114 offset1:169
	s_waitcnt lgkmcnt(1)
	v_lshrrev_b32_e32 v204, 16, v126
	v_add_u32_e32 v198, 0x800, v139
	ds_read2_b32 v[130:131], v198 offset0:38 offset1:93
	v_lshrrev_b32_e32 v205, 16, v123
	s_waitcnt lgkmcnt(1)
	v_lshrrev_b32_e32 v206, 16, v128
	v_add_u32_e32 v120, 0x1400, v139
	ds_read2_b32 v[132:133], v120 offset0:40 offset1:95
	s_waitcnt lgkmcnt(1)
	v_lshrrev_b32_e32 v207, 16, v130
	v_lshrrev_b32_e32 v208, 16, v127
	v_add_u32_e32 v114, 0xe00, v139
	ds_read2_b32 v[134:135], v114 offset0:94 offset1:149
	s_waitcnt lgkmcnt(1)
	v_lshrrev_b32_e32 v209, 16, v132
	v_lshrrev_b32_e32 v210, 16, v129
	v_add_u32_e32 v121, 0x1a00, v139
	v_lshrrev_b32_e32 v211, 16, v131
	ds_read2_b32 v[136:137], v121 offset0:96 offset1:151
	s_waitcnt lgkmcnt(1)
	v_lshrrev_b32_e32 v212, 16, v134
	ds_read2_b32 v[191:192], v198 offset0:148 offset1:203
	v_lshrrev_b32_e32 v213, 16, v133
	ds_read2_b32 v[193:194], v120 offset0:150 offset1:205
	s_waitcnt lgkmcnt(2)
	v_lshrrev_b32_e32 v214, 16, v136
	v_lshrrev_b32_e32 v216, 16, v135
	s_waitcnt lgkmcnt(1)
	v_lshrrev_b32_e32 v215, 16, v191
	v_lshrrev_b32_e32 v218, 16, v137
	;; [unrolled: 3-line block ×3, first 2 shown]
	ds_read_b32 v219, v139 offset:7480
	v_lshrrev_b32_e32 v221, 16, v105
	v_lshrrev_b32_e32 v222, 16, v194
	s_movk_i32 s5, 0x3b9c
	s_mov_b32 s7, 0xbb9c
	s_waitcnt vmcnt(3)
	v_mul_f16_sdwa v49, v48, v32 dst_sel:DWORD dst_unused:UNUSED_PAD src0_sel:DWORD src1_sel:WORD_1
	v_fma_f16 v224, v61, v32, -v49
	v_mul_f16_sdwa v49, v61, v32 dst_sel:DWORD dst_unused:UNUSED_PAD src0_sel:DWORD src1_sel:WORD_1
	v_fma_f16 v225, v48, v32, v49
	v_mul_u32_u24_sdwa v48, v76, s4 dst_sel:DWORD dst_unused:UNUSED_PAD src0_sel:WORD_0 src1_sel:DWORD
	v_lshrrev_b32_e32 v61, 19, v48
	v_mul_lo_u16_e32 v48, 0x4d, v61
	v_sub_u16_e32 v69, v76, v48
	v_lshlrev_b16_e32 v48, 4, v69
	v_mul_f16_sdwa v53, v52, v33 dst_sel:DWORD dst_unused:UNUSED_PAD src0_sel:DWORD src1_sel:WORD_1
	v_add_co_u32_e32 v48, vcc, s14, v48
	v_addc_co_u32_e32 v49, vcc, 0, v58, vcc
	v_fma_f16 v226, v85, v33, -v53
	v_mul_f16_sdwa v53, v85, v33 dst_sel:DWORD dst_unused:UNUSED_PAD src0_sel:DWORD src1_sel:WORD_1
	global_load_dwordx4 v[48:51], v[48:49], off offset:280
	v_fma_f16 v85, v52, v33, v53
	v_mul_f16_sdwa v52, v56, v34 dst_sel:DWORD dst_unused:UNUSED_PAD src0_sel:DWORD src1_sel:WORD_1
	v_fma_f16 v227, v106, v34, -v52
	v_mul_u32_u24_sdwa v52, v80, s4 dst_sel:DWORD dst_unused:UNUSED_PAD src0_sel:WORD_0 src1_sel:DWORD
	v_lshrrev_b32_e32 v74, 19, v52
	v_mul_lo_u16_e32 v52, 0x4d, v74
	v_sub_u16_e32 v75, v80, v52
	v_lshlrev_b16_e32 v52, 4, v75
	v_mul_f16_sdwa v59, v106, v34 dst_sel:DWORD dst_unused:UNUSED_PAD src0_sel:DWORD src1_sel:WORD_1
	v_add_co_u32_e32 v52, vcc, s14, v52
	v_addc_co_u32_e32 v53, vcc, 0, v58, vcc
	v_fma_f16 v106, v56, v34, v59
	v_mul_f16_sdwa v56, v57, v35 dst_sel:DWORD dst_unused:UNUSED_PAD src0_sel:DWORD src1_sel:WORD_1
	global_load_dwordx4 v[52:55], v[52:53], off offset:280
	v_fma_f16 v228, v115, v35, -v56
	v_mul_f16_sdwa v56, v115, v35 dst_sel:DWORD dst_unused:UNUSED_PAD src0_sel:DWORD src1_sel:WORD_1
	v_fma_f16 v115, v57, v35, v56
	v_mul_u32_u24_sdwa v56, v84, s4 dst_sel:DWORD dst_unused:UNUSED_PAD src0_sel:WORD_0 src1_sel:DWORD
	v_lshrrev_b32_e32 v56, 19, v56
	v_mul_lo_u16_e32 v56, 0x4d, v56
	v_sub_u16_e32 v78, v84, v56
	v_lshlrev_b16_e32 v56, 4, v78
	v_add_co_u32_e32 v56, vcc, s14, v56
	v_addc_co_u32_e32 v57, vcc, 0, v58, vcc
	global_load_dwordx4 v[56:59], v[56:57], off offset:280
	s_waitcnt vmcnt(5)
	v_mul_f16_sdwa v229, v195, v36 dst_sel:DWORD dst_unused:UNUSED_PAD src0_sel:DWORD src1_sel:WORD_1
	v_fma_f16 v229, v117, v36, -v229
	v_mul_f16_sdwa v117, v117, v36 dst_sel:DWORD dst_unused:UNUSED_PAD src0_sel:DWORD src1_sel:WORD_1
	v_fma_f16 v117, v195, v36, v117
	v_mul_f16_sdwa v195, v196, v37 dst_sel:DWORD dst_unused:UNUSED_PAD src0_sel:DWORD src1_sel:WORD_1
	v_fma_f16 v195, v86, v37, -v195
	v_mul_f16_sdwa v86, v86, v37 dst_sel:DWORD dst_unused:UNUSED_PAD src0_sel:DWORD src1_sel:WORD_1
	v_fma_f16 v86, v196, v37, v86
	v_mul_f16_sdwa v196, v200, v38 dst_sel:DWORD dst_unused:UNUSED_PAD src0_sel:DWORD src1_sel:WORD_1
	v_fma_f16 v196, v122, v38, -v196
	v_mul_f16_sdwa v122, v122, v38 dst_sel:DWORD dst_unused:UNUSED_PAD src0_sel:DWORD src1_sel:WORD_1
	v_fma_f16 v122, v200, v38, v122
	v_mul_f16_sdwa v200, v201, v39 dst_sel:DWORD dst_unused:UNUSED_PAD src0_sel:DWORD src1_sel:WORD_1
	v_fma_f16 v200, v116, v39, -v200
	v_mul_f16_sdwa v116, v116, v39 dst_sel:DWORD dst_unused:UNUSED_PAD src0_sel:DWORD src1_sel:WORD_1
	v_fma_f16 v116, v201, v39, v116
	s_waitcnt vmcnt(4)
	v_mul_f16_sdwa v201, v203, v40 dst_sel:DWORD dst_unused:UNUSED_PAD src0_sel:DWORD src1_sel:WORD_1
	v_fma_f16 v201, v118, v40, -v201
	v_mul_f16_sdwa v118, v118, v40 dst_sel:DWORD dst_unused:UNUSED_PAD src0_sel:DWORD src1_sel:WORD_1
	v_fma_f16 v118, v203, v40, v118
	v_mul_f16_sdwa v203, v204, v41 dst_sel:DWORD dst_unused:UNUSED_PAD src0_sel:DWORD src1_sel:WORD_1
	v_fma_f16 v203, v126, v41, -v203
	v_mul_f16_sdwa v126, v126, v41 dst_sel:DWORD dst_unused:UNUSED_PAD src0_sel:DWORD src1_sel:WORD_1
	v_fma_f16 v126, v204, v41, v126
	v_mul_f16_sdwa v204, v205, v42 dst_sel:DWORD dst_unused:UNUSED_PAD src0_sel:DWORD src1_sel:WORD_1
	v_fma_f16 v204, v123, v42, -v204
	v_mul_f16_sdwa v123, v123, v42 dst_sel:DWORD dst_unused:UNUSED_PAD src0_sel:DWORD src1_sel:WORD_1
	v_fma_f16 v123, v205, v42, v123
	v_mul_f16_sdwa v205, v206, v43 dst_sel:DWORD dst_unused:UNUSED_PAD src0_sel:DWORD src1_sel:WORD_1
	v_fma_f16 v205, v128, v43, -v205
	v_mul_f16_sdwa v128, v128, v43 dst_sel:DWORD dst_unused:UNUSED_PAD src0_sel:DWORD src1_sel:WORD_1
	v_fma_f16 v128, v206, v43, v128
	;; [unrolled: 17-line block ×3, first 2 shown]
	v_add_f16_e32 v230, v226, v227
	v_fma_f16 v230, v230, -0.5, v82
	s_waitcnt vmcnt(2)
	v_mul_f16_sdwa v210, v211, v48 dst_sel:DWORD dst_unused:UNUSED_PAD src0_sel:DWORD src1_sel:WORD_1
	v_fma_f16 v210, v131, v48, -v210
	v_mul_f16_sdwa v131, v131, v48 dst_sel:DWORD dst_unused:UNUSED_PAD src0_sel:DWORD src1_sel:WORD_1
	v_fma_f16 v131, v211, v48, v131
	v_mul_f16_sdwa v211, v212, v49 dst_sel:DWORD dst_unused:UNUSED_PAD src0_sel:DWORD src1_sel:WORD_1
	v_fma_f16 v211, v134, v49, -v211
	v_mul_f16_sdwa v134, v134, v49 dst_sel:DWORD dst_unused:UNUSED_PAD src0_sel:DWORD src1_sel:WORD_1
	v_fma_f16 v134, v212, v49, v134
	;; [unrolled: 4-line block ×4, first 2 shown]
	s_waitcnt vmcnt(1)
	v_mul_f16_sdwa v214, v215, v52 dst_sel:DWORD dst_unused:UNUSED_PAD src0_sel:DWORD src1_sel:WORD_1
	v_fma_f16 v214, v191, v52, -v214
	v_mul_f16_sdwa v191, v191, v52 dst_sel:DWORD dst_unused:UNUSED_PAD src0_sel:DWORD src1_sel:WORD_1
	v_fma_f16 v191, v215, v52, v191
	v_mul_f16_sdwa v215, v216, v53 dst_sel:DWORD dst_unused:UNUSED_PAD src0_sel:DWORD src1_sel:WORD_1
	v_fma_f16 v215, v135, v53, -v215
	v_mul_f16_sdwa v135, v135, v53 dst_sel:DWORD dst_unused:UNUSED_PAD src0_sel:DWORD src1_sel:WORD_1
	v_fma_f16 v135, v216, v53, v135
	;; [unrolled: 4-line block ×4, first 2 shown]
	s_waitcnt vmcnt(0)
	v_mul_f16_sdwa v218, v220, v56 dst_sel:DWORD dst_unused:UNUSED_PAD src0_sel:DWORD src1_sel:WORD_1
	v_fma_f16 v218, v192, v56, -v218
	v_mul_f16_sdwa v192, v192, v56 dst_sel:DWORD dst_unused:UNUSED_PAD src0_sel:DWORD src1_sel:WORD_1
	v_fma_f16 v192, v220, v56, v192
	v_mul_f16_sdwa v220, v221, v57 dst_sel:DWORD dst_unused:UNUSED_PAD src0_sel:DWORD src1_sel:WORD_1
	v_fma_f16 v220, v105, v57, -v220
	v_mul_f16_sdwa v105, v105, v57 dst_sel:DWORD dst_unused:UNUSED_PAD src0_sel:DWORD src1_sel:WORD_1
	v_fma_f16 v105, v221, v57, v105
	v_mul_f16_sdwa v221, v222, v58 dst_sel:DWORD dst_unused:UNUSED_PAD src0_sel:DWORD src1_sel:WORD_1
	v_sub_f16_e32 v231, v225, v115
	s_waitcnt lgkmcnt(0)
	v_lshrrev_b32_e32 v223, 16, v219
	v_fma_f16 v221, v194, v58, -v221
	v_mul_f16_sdwa v194, v194, v58 dst_sel:DWORD dst_unused:UNUSED_PAD src0_sel:DWORD src1_sel:WORD_1
	v_fma_f16 v232, v231, s5, v230
	v_sub_f16_e32 v233, v85, v106
	s_movk_i32 s4, 0x38b4
	v_sub_f16_e32 v234, v224, v226
	v_sub_f16_e32 v235, v228, v227
	v_fma_f16 v230, v231, s7, v230
	s_mov_b32 s16, 0xb8b4
	v_fma_f16 v194, v222, v58, v194
	v_mul_f16_sdwa v222, v223, v59 dst_sel:DWORD dst_unused:UNUSED_PAD src0_sel:DWORD src1_sel:WORD_1
	v_fma_f16 v232, v233, s4, v232
	v_add_f16_e32 v234, v234, v235
	s_movk_i32 s6, 0x34f2
	v_fma_f16 v230, v233, s16, v230
	v_fma_f16 v222, v219, v59, -v222
	v_mul_f16_sdwa v219, v219, v59 dst_sel:DWORD dst_unused:UNUSED_PAD src0_sel:DWORD src1_sel:WORD_1
	v_fma_f16 v232, v234, s6, v232
	v_fma_f16 v230, v234, s6, v230
	v_add_f16_e32 v234, v224, v228
	v_lshrrev_b32_e32 v87, 16, v82
	v_fma_f16 v219, v223, v59, v219
	v_add_f16_e32 v223, v82, v224
	v_fma_f16 v82, v234, -0.5, v82
	v_add_f16_e32 v223, v223, v226
	v_fma_f16 v234, v233, s7, v82
	v_fma_f16 v82, v233, s5, v82
	v_add_f16_e32 v233, v85, v106
	v_add_f16_e32 v223, v223, v227
	v_sub_f16_e32 v235, v226, v224
	v_sub_f16_e32 v236, v227, v228
	v_fma_f16 v233, v233, -0.5, v87
	v_sub_f16_e32 v224, v224, v228
	v_add_f16_e32 v223, v223, v228
	v_fma_f16 v234, v231, s4, v234
	v_add_f16_e32 v235, v235, v236
	v_fma_f16 v82, v231, s16, v82
	v_fma_f16 v228, v224, s7, v233
	v_sub_f16_e32 v226, v226, v227
	v_fma_f16 v234, v235, s6, v234
	v_fma_f16 v82, v235, s6, v82
	;; [unrolled: 1-line block ×3, first 2 shown]
	v_sub_f16_e32 v228, v225, v85
	v_sub_f16_e32 v235, v115, v106
	v_fma_f16 v233, v224, s5, v233
	v_add_f16_e32 v231, v87, v225
	v_add_f16_e32 v228, v228, v235
	v_fma_f16 v233, v226, s4, v233
	v_add_f16_e32 v231, v231, v85
	v_fma_f16 v227, v228, s6, v227
	v_fma_f16 v228, v228, s6, v233
	v_add_f16_e32 v233, v225, v115
	v_add_f16_e32 v231, v231, v106
	v_fma_f16 v87, v233, -0.5, v87
	v_add_f16_e32 v231, v231, v115
	v_fma_f16 v233, v226, s5, v87
	v_sub_f16_e32 v85, v85, v225
	v_sub_f16_e32 v106, v106, v115
	v_fma_f16 v87, v226, s7, v87
	v_add_f16_e32 v115, v195, v196
	v_fma_f16 v233, v224, s16, v233
	v_add_f16_e32 v85, v85, v106
	v_fma_f16 v87, v224, s4, v87
	v_fma_f16 v115, v115, -0.5, v83
	v_sub_f16_e32 v224, v117, v116
	v_fma_f16 v106, v85, s6, v233
	v_fma_f16 v225, v224, s5, v115
	v_sub_f16_e32 v226, v86, v122
	v_sub_f16_e32 v233, v229, v195
	;; [unrolled: 1-line block ×3, first 2 shown]
	v_fma_f16 v115, v224, s7, v115
	v_fma_f16 v225, v226, s4, v225
	v_add_f16_e32 v233, v233, v235
	v_fma_f16 v115, v226, s16, v115
	v_fma_f16 v85, v85, s6, v87
	v_add_f16_e32 v87, v83, v229
	;; [unrolled: 3-line block ×3, first 2 shown]
	v_lshrrev_b32_e32 v138, 16, v83
	v_add_f16_e32 v87, v87, v195
	v_fma_f16 v83, v233, -0.5, v83
	v_add_f16_e32 v87, v87, v196
	v_fma_f16 v233, v226, s7, v83
	v_fma_f16 v83, v226, s5, v83
	v_add_f16_e32 v226, v86, v122
	v_add_f16_e32 v87, v87, v200
	v_sub_f16_e32 v235, v195, v229
	v_sub_f16_e32 v236, v196, v200
	v_fma_f16 v226, v226, -0.5, v138
	v_sub_f16_e32 v200, v229, v200
	v_fma_f16 v233, v224, s4, v233
	v_add_f16_e32 v235, v235, v236
	v_fma_f16 v83, v224, s16, v83
	v_fma_f16 v229, v200, s7, v226
	v_sub_f16_e32 v195, v195, v196
	ds_read2_b32 v[124:125], v139 offset0:110 offset1:165
	v_fma_f16 v233, v235, s6, v233
	v_fma_f16 v83, v235, s6, v83
	v_fma_f16 v196, v195, s16, v229
	v_sub_f16_e32 v229, v117, v86
	v_sub_f16_e32 v235, v116, v122
	v_fma_f16 v226, v200, s5, v226
	v_add_f16_e32 v224, v138, v117
	v_add_f16_e32 v229, v229, v235
	v_fma_f16 v226, v195, s4, v226
	v_add_f16_e32 v224, v224, v86
	v_fma_f16 v196, v229, s6, v196
	v_fma_f16 v226, v229, s6, v226
	v_add_f16_e32 v229, v117, v116
	v_add_f16_e32 v224, v224, v122
	v_fma_f16 v138, v229, -0.5, v138
	v_add_f16_e32 v224, v224, v116
	v_fma_f16 v229, v195, s5, v138
	v_sub_f16_e32 v86, v86, v117
	v_sub_f16_e32 v116, v122, v116
	v_add_f16_e32 v122, v203, v204
	v_fma_f16 v229, v200, s16, v229
	v_add_f16_e32 v86, v86, v116
	v_fma_f16 v117, v195, s7, v138
	s_waitcnt lgkmcnt(0)
	v_fma_f16 v122, v122, -0.5, v124
	v_sub_f16_e32 v138, v118, v128
	v_fma_f16 v116, v86, s6, v229
	v_fma_f16 v117, v200, s4, v117
	;; [unrolled: 1-line block ×3, first 2 shown]
	v_sub_f16_e32 v200, v126, v123
	v_sub_f16_e32 v229, v201, v203
	;; [unrolled: 1-line block ×3, first 2 shown]
	v_fma_f16 v122, v138, s7, v122
	v_fma_f16 v195, v200, s4, v195
	v_add_f16_e32 v229, v229, v235
	v_fma_f16 v122, v200, s16, v122
	v_fma_f16 v195, v229, s6, v195
	;; [unrolled: 1-line block ×3, first 2 shown]
	v_add_f16_e32 v229, v201, v205
	v_lshrrev_b32_e32 v202, 16, v124
	v_fma_f16 v86, v86, s6, v117
	v_add_f16_e32 v117, v124, v201
	v_fma_f16 v124, v229, -0.5, v124
	v_add_f16_e32 v117, v117, v203
	v_fma_f16 v229, v200, s7, v124
	v_fma_f16 v124, v200, s5, v124
	v_add_f16_e32 v200, v126, v123
	v_add_f16_e32 v117, v117, v204
	v_sub_f16_e32 v235, v203, v201
	v_sub_f16_e32 v236, v204, v205
	v_fma_f16 v200, v200, -0.5, v202
	v_sub_f16_e32 v201, v201, v205
	v_add_f16_e32 v117, v117, v205
	v_fma_f16 v229, v138, s4, v229
	v_add_f16_e32 v235, v235, v236
	v_fma_f16 v124, v138, s16, v124
	v_fma_f16 v205, v201, s7, v200
	v_sub_f16_e32 v203, v203, v204
	v_fma_f16 v229, v235, s6, v229
	v_fma_f16 v124, v235, s6, v124
	;; [unrolled: 1-line block ×3, first 2 shown]
	v_sub_f16_e32 v205, v118, v126
	v_sub_f16_e32 v235, v128, v123
	v_fma_f16 v200, v201, s5, v200
	v_add_f16_e32 v138, v202, v118
	v_add_f16_e32 v205, v205, v235
	v_fma_f16 v200, v203, s4, v200
	v_add_f16_e32 v138, v138, v126
	v_fma_f16 v204, v205, s6, v204
	v_fma_f16 v200, v205, s6, v200
	v_add_f16_e32 v205, v118, v128
	v_add_f16_e32 v138, v138, v123
	v_fma_f16 v202, v205, -0.5, v202
	v_add_f16_e32 v138, v138, v128
	v_fma_f16 v205, v203, s5, v202
	v_sub_f16_e32 v118, v126, v118
	v_sub_f16_e32 v123, v123, v128
	v_fma_f16 v126, v203, s7, v202
	v_add_f16_e32 v128, v207, v208
	v_fma_f16 v205, v201, s16, v205
	v_add_f16_e32 v118, v118, v123
	v_fma_f16 v126, v201, s4, v126
	v_fma_f16 v128, v128, -0.5, v125
	v_sub_f16_e32 v201, v130, v129
	v_fma_f16 v123, v118, s6, v205
	v_fma_f16 v202, v201, s5, v128
	v_sub_f16_e32 v203, v127, v132
	v_sub_f16_e32 v205, v206, v207
	;; [unrolled: 1-line block ×3, first 2 shown]
	v_fma_f16 v128, v201, s7, v128
	v_fma_f16 v202, v203, s4, v202
	v_add_f16_e32 v205, v205, v235
	v_fma_f16 v128, v203, s16, v128
	v_fma_f16 v202, v205, s6, v202
	;; [unrolled: 1-line block ×3, first 2 shown]
	v_add_f16_e32 v205, v206, v209
	v_lshrrev_b32_e32 v81, 16, v125
	v_fma_f16 v118, v118, s6, v126
	v_add_f16_e32 v126, v125, v206
	v_fma_f16 v125, v205, -0.5, v125
	v_add_f16_e32 v126, v126, v207
	v_fma_f16 v205, v203, s7, v125
	v_fma_f16 v125, v203, s5, v125
	v_add_f16_e32 v203, v127, v132
	v_add_f16_e32 v126, v126, v208
	v_sub_f16_e32 v235, v207, v206
	v_sub_f16_e32 v236, v208, v209
	v_fma_f16 v203, v203, -0.5, v81
	v_sub_f16_e32 v206, v206, v209
	v_add_u32_e32 v199, 0x200, v139
	v_add_f16_e32 v126, v126, v209
	v_fma_f16 v205, v201, s4, v205
	v_add_f16_e32 v235, v235, v236
	v_fma_f16 v125, v201, s16, v125
	v_fma_f16 v209, v206, s7, v203
	v_sub_f16_e32 v207, v207, v208
	ds_read2_b32 v[63:64], v199 offset0:92 offset1:147
	v_fma_f16 v205, v235, s6, v205
	v_fma_f16 v125, v235, s6, v125
	;; [unrolled: 1-line block ×3, first 2 shown]
	v_sub_f16_e32 v209, v130, v127
	v_sub_f16_e32 v235, v129, v132
	v_fma_f16 v203, v206, s5, v203
	v_add_f16_e32 v201, v81, v130
	v_add_f16_e32 v209, v209, v235
	v_fma_f16 v203, v207, s4, v203
	v_add_f16_e32 v201, v201, v127
	v_fma_f16 v208, v209, s6, v208
	v_fma_f16 v203, v209, s6, v203
	v_add_f16_e32 v209, v130, v129
	v_add_f16_e32 v201, v201, v132
	v_fma_f16 v81, v209, -0.5, v81
	v_add_f16_e32 v201, v201, v129
	v_fma_f16 v209, v207, s5, v81
	v_sub_f16_e32 v127, v127, v130
	v_sub_f16_e32 v129, v132, v129
	v_add_f16_e32 v130, v211, v212
	v_fma_f16 v209, v206, s16, v209
	v_add_f16_e32 v127, v127, v129
	v_fma_f16 v81, v207, s7, v81
	s_waitcnt lgkmcnt(0)
	v_fma_f16 v130, v130, -0.5, v63
	v_sub_f16_e32 v132, v131, v136
	v_fma_f16 v129, v127, s6, v209
	v_fma_f16 v81, v206, s4, v81
	;; [unrolled: 1-line block ×3, first 2 shown]
	v_sub_f16_e32 v207, v134, v133
	v_sub_f16_e32 v209, v210, v211
	;; [unrolled: 1-line block ×3, first 2 shown]
	v_fma_f16 v130, v132, s7, v130
	v_fma_f16 v206, v207, s4, v206
	v_add_f16_e32 v209, v209, v235
	v_fma_f16 v130, v207, s16, v130
	v_fma_f16 v206, v209, s6, v206
	;; [unrolled: 1-line block ×3, first 2 shown]
	v_add_f16_e32 v209, v210, v213
	v_lshrrev_b32_e32 v79, 16, v63
	v_fma_f16 v81, v127, s6, v81
	v_add_f16_e32 v127, v63, v210
	v_fma_f16 v63, v209, -0.5, v63
	v_add_f16_e32 v127, v127, v211
	v_fma_f16 v209, v207, s7, v63
	v_fma_f16 v63, v207, s5, v63
	v_add_f16_e32 v207, v134, v133
	v_add_f16_e32 v127, v127, v212
	v_sub_f16_e32 v235, v211, v210
	v_sub_f16_e32 v236, v212, v213
	v_fma_f16 v207, v207, -0.5, v79
	v_sub_f16_e32 v210, v210, v213
	v_add_f16_e32 v127, v127, v213
	v_fma_f16 v209, v132, s4, v209
	v_add_f16_e32 v235, v235, v236
	v_fma_f16 v63, v132, s16, v63
	v_fma_f16 v213, v210, s7, v207
	v_sub_f16_e32 v211, v211, v212
	v_fma_f16 v209, v235, s6, v209
	v_fma_f16 v63, v235, s6, v63
	;; [unrolled: 1-line block ×3, first 2 shown]
	v_sub_f16_e32 v213, v131, v134
	v_sub_f16_e32 v235, v136, v133
	v_fma_f16 v207, v210, s5, v207
	v_add_f16_e32 v213, v213, v235
	v_fma_f16 v207, v211, s4, v207
	v_add_f16_e32 v132, v79, v131
	v_fma_f16 v212, v213, s6, v212
	v_fma_f16 v207, v213, s6, v207
	v_add_f16_e32 v213, v131, v136
	v_add_f16_e32 v132, v132, v134
	v_fma_f16 v79, v213, -0.5, v79
	v_add_f16_e32 v132, v132, v133
	v_fma_f16 v213, v211, s5, v79
	v_sub_f16_e32 v131, v134, v131
	v_sub_f16_e32 v133, v133, v136
	v_add_f16_e32 v134, v215, v216
	v_add_f16_e32 v132, v132, v136
	v_fma_f16 v213, v210, s16, v213
	v_add_f16_e32 v131, v131, v133
	v_fma_f16 v79, v211, s7, v79
	v_fma_f16 v134, v134, -0.5, v64
	v_sub_f16_e32 v136, v191, v137
	v_fma_f16 v133, v131, s6, v213
	v_fma_f16 v79, v210, s4, v79
	;; [unrolled: 1-line block ×3, first 2 shown]
	v_sub_f16_e32 v211, v135, v193
	v_sub_f16_e32 v213, v214, v215
	;; [unrolled: 1-line block ×3, first 2 shown]
	v_fma_f16 v134, v136, s7, v134
	v_fma_f16 v210, v211, s4, v210
	v_add_f16_e32 v213, v213, v235
	v_fma_f16 v134, v211, s16, v134
	v_fma_f16 v210, v213, s6, v210
	;; [unrolled: 1-line block ×3, first 2 shown]
	v_add_f16_e32 v213, v214, v217
	v_lshrrev_b32_e32 v77, 16, v64
	v_fma_f16 v79, v131, s6, v79
	v_add_f16_e32 v131, v64, v214
	v_fma_f16 v64, v213, -0.5, v64
	v_add_f16_e32 v131, v131, v215
	v_fma_f16 v213, v211, s7, v64
	v_fma_f16 v64, v211, s5, v64
	v_add_f16_e32 v211, v135, v193
	v_add_f16_e32 v131, v131, v216
	v_sub_f16_e32 v235, v215, v214
	v_sub_f16_e32 v236, v216, v217
	v_fma_f16 v211, v211, -0.5, v77
	v_sub_f16_e32 v214, v214, v217
	v_add_f16_e32 v131, v131, v217
	v_fma_f16 v213, v136, s4, v213
	v_add_f16_e32 v235, v235, v236
	v_fma_f16 v64, v136, s16, v64
	v_fma_f16 v217, v214, s7, v211
	v_sub_f16_e32 v215, v215, v216
	v_fma_f16 v213, v235, s6, v213
	v_fma_f16 v64, v235, s6, v64
	;; [unrolled: 1-line block ×3, first 2 shown]
	v_sub_f16_e32 v217, v191, v135
	v_sub_f16_e32 v235, v137, v193
	v_fma_f16 v211, v214, s5, v211
	v_add_f16_e32 v136, v77, v191
	v_add_f16_e32 v217, v217, v235
	v_fma_f16 v211, v215, s4, v211
	v_add_f16_e32 v136, v136, v135
	v_fma_f16 v216, v217, s6, v216
	v_fma_f16 v211, v217, s6, v211
	v_add_f16_e32 v217, v191, v137
	v_add_f16_e32 v136, v136, v193
	v_fma_f16 v77, v217, -0.5, v77
	v_add_f16_e32 v136, v136, v137
	v_fma_f16 v217, v215, s5, v77
	v_sub_f16_e32 v135, v135, v191
	v_sub_f16_e32 v137, v193, v137
	v_add_f16_e32 v191, v220, v221
	v_fma_f16 v217, v214, s16, v217
	v_add_f16_e32 v135, v135, v137
	v_fma_f16 v77, v215, s7, v77
	v_fma_f16 v191, v191, -0.5, v60
	v_sub_f16_e32 v193, v192, v219
	v_fma_f16 v137, v135, s6, v217
	v_fma_f16 v77, v214, s4, v77
	;; [unrolled: 1-line block ×3, first 2 shown]
	v_sub_f16_e32 v215, v105, v194
	v_sub_f16_e32 v217, v218, v220
	;; [unrolled: 1-line block ×3, first 2 shown]
	v_fma_f16 v191, v193, s7, v191
	v_fma_f16 v214, v215, s4, v214
	v_add_f16_e32 v217, v217, v235
	v_fma_f16 v191, v215, s16, v191
	v_fma_f16 v214, v217, s6, v214
	;; [unrolled: 1-line block ×3, first 2 shown]
	v_add_f16_e32 v191, v218, v222
	v_lshrrev_b32_e32 v73, 16, v60
	v_fma_f16 v77, v135, s6, v77
	v_add_f16_e32 v135, v60, v218
	v_fma_f16 v60, v191, -0.5, v60
	v_fma_f16 v191, v215, s7, v60
	v_sub_f16_e32 v235, v220, v218
	v_sub_f16_e32 v236, v221, v222
	v_fma_f16 v191, v193, s4, v191
	v_add_f16_e32 v235, v235, v236
	v_fma_f16 v236, v235, s6, v191
	v_add_f16_e32 v191, v73, v192
	v_add_f16_e32 v191, v191, v105
	;; [unrolled: 1-line block ×4, first 2 shown]
	v_fma_f16 v60, v215, s5, v60
	v_add_f16_e32 v215, v191, v219
	v_add_f16_e32 v191, v105, v194
	;; [unrolled: 1-line block ×3, first 2 shown]
	v_fma_f16 v60, v193, s16, v60
	v_fma_f16 v191, v191, -0.5, v73
	v_sub_f16_e32 v193, v218, v222
	v_add_f16_e32 v135, v135, v222
	v_fma_f16 v218, v193, s7, v191
	v_sub_f16_e32 v220, v220, v221
	v_sub_f16_e32 v221, v192, v105
	;; [unrolled: 1-line block ×3, first 2 shown]
	v_fma_f16 v191, v193, s5, v191
	v_fma_f16 v218, v220, s16, v218
	v_add_f16_e32 v221, v221, v222
	v_fma_f16 v191, v220, s4, v191
	v_fma_f16 v218, v221, s6, v218
	;; [unrolled: 1-line block ×3, first 2 shown]
	v_add_f16_e32 v191, v192, v219
	v_fma_f16 v73, v191, -0.5, v73
	v_fma_f16 v191, v220, s5, v73
	v_sub_f16_e32 v105, v105, v192
	v_sub_f16_e32 v192, v194, v219
	v_fma_f16 v73, v220, s7, v73
	v_fma_f16 v191, v193, s16, v191
	v_add_f16_e32 v105, v105, v192
	v_fma_f16 v73, v193, s4, v73
	v_fma_f16 v219, v105, s6, v191
	;; [unrolled: 1-line block ×3, first 2 shown]
	v_pack_b32_f16 v105, v223, v231
	v_pack_b32_f16 v191, v232, v227
	s_waitcnt lgkmcnt(0)
	; wave barrier
	ds_write2_b32 v139, v105, v191 offset1:77
	v_pack_b32_f16 v105, v234, v106
	v_pack_b32_f16 v82, v82, v85
	ds_write2_b32 v139, v105, v82 offset0:154 offset1:231
	v_pack_b32_f16 v82, v230, v228
	ds_write_b32 v139, v82 offset:1232
	v_mov_b32_e32 v82, 0x181
	v_cmp_lt_u16_e32 vcc, 21, v174
	v_cndmask_b32_e32 v82, 0, v82, vcc
	v_add_lshl_u32 v191, v62, v82, 2
	v_pack_b32_f16 v62, v87, v224
	v_pack_b32_f16 v82, v225, v196
	ds_write2_b32 v191, v62, v82 offset1:77
	v_pack_b32_f16 v62, v233, v116
	v_pack_b32_f16 v82, v83, v86
	ds_write2_b32 v191, v62, v82 offset0:154 offset1:231
	v_pack_b32_f16 v62, v115, v226
	ds_write_b32 v191, v62 offset:1232
	v_mul_u32_u24_e32 v62, 0x181, v66
	v_add_lshl_u32 v192, v62, v67, 2
	v_pack_b32_f16 v62, v117, v138
	v_pack_b32_f16 v66, v195, v204
	ds_write2_b32 v192, v62, v66 offset1:77
	v_pack_b32_f16 v62, v229, v123
	v_pack_b32_f16 v66, v124, v118
	ds_write2_b32 v192, v62, v66 offset0:154 offset1:231
	v_pack_b32_f16 v62, v122, v200
	ds_write_b32 v192, v62 offset:1232
	v_mov_b32_e32 v62, 2
	v_lshlrev_b32_sdwa v193, v62, v68 dst_sel:DWORD dst_unused:UNUSED_PAD src0_sel:DWORD src1_sel:BYTE_0
	v_pack_b32_f16 v62, v126, v201
	v_pack_b32_f16 v66, v202, v208
	v_add_u32_e32 v67, 0xc00, v193
	s_movk_i32 s17, 0x181
	ds_write2_b32 v67, v62, v66 offset0:2 offset1:79
	v_pack_b32_f16 v62, v205, v129
	v_pack_b32_f16 v66, v125, v81
	ds_write2_b32 v67, v62, v66 offset0:156 offset1:233
	v_pack_b32_f16 v62, v128, v203
	v_mad_legacy_u16 v61, v61, s17, v69
	ds_write_b32 v193, v62 offset:4312
	v_lshlrev_b32_e32 v194, 2, v61
	v_pack_b32_f16 v61, v127, v132
	v_pack_b32_f16 v62, v206, v212
	ds_write2_b32 v194, v61, v62 offset1:77
	v_pack_b32_f16 v61, v209, v133
	v_pack_b32_f16 v62, v63, v79
	ds_write2_b32 v194, v61, v62 offset0:154 offset1:231
	v_pack_b32_f16 v61, v130, v207
	ds_write_b32 v194, v61 offset:1232
	v_mad_legacy_u16 v61, v74, s17, v75
	v_lshlrev_b32_e32 v195, 2, v61
	v_pack_b32_f16 v61, v131, v136
	v_pack_b32_f16 v62, v210, v216
	ds_write2_b32 v195, v61, v62 offset1:77
	v_pack_b32_f16 v61, v213, v137
	v_pack_b32_f16 v62, v64, v77
	ds_write2_b32 v195, v61, v62 offset0:154 offset1:231
	v_pack_b32_f16 v61, v134, v211
	v_lshlrev_b32_e32 v196, 2, v78
	v_fma_f16 v60, v235, s6, v60
	ds_write_b32 v195, v61 offset:1232
	v_pack_b32_f16 v61, v135, v215
	v_pack_b32_f16 v62, v214, v218
	v_add_u32_e32 v63, 0x1800, v196
	ds_write2_b32 v63, v61, v62 offset0:4 offset1:81
	v_pack_b32_f16 v61, v236, v219
	v_pack_b32_f16 v60, v60, v73
	ds_write2_b32 v63, v61, v60 offset0:158 offset1:235
	v_pack_b32_f16 v60, v217, v221
	ds_write_b32 v196, v60 offset:7392
	s_waitcnt lgkmcnt(0)
	; wave barrier
	s_waitcnt lgkmcnt(0)
	global_load_dwordx4 v[60:63], v65, s[14:15] offset:1512
	v_lshlrev_b32_e32 v64, 4, v70
	global_load_dwordx4 v[64:67], v64, s[14:15] offset:1512
	v_lshlrev_b32_e32 v68, 2, v174
	v_mov_b32_e32 v69, s13
	v_add_co_u32_e32 v115, vcc, s12, v68
	v_lshlrev_b32_e32 v68, 4, v71
	ds_read2_b32 v[122:123], v139 offset1:55
	v_addc_co_u32_e32 v116, vcc, 0, v69, vcc
	ds_read2_b32 v[105:106], v113 offset0:74 offset1:129
	ds_read2_b32 v[124:125], v119 offset0:2 offset1:57
	;; [unrolled: 1-line block ×4, first 2 shown]
	global_load_dwordx4 v[68:71], v68, s[14:15] offset:1512
	v_lshlrev_b32_e32 v72, 4, v72
	global_load_dwordx4 v[72:75], v72, s[14:15] offset:1512
	v_lshlrev_b32_e32 v76, 4, v76
	ds_read2_b32 v[130:131], v113 offset0:184 offset1:239
	ds_read2_b32 v[132:133], v112 offset0:186 offset1:241
	;; [unrolled: 1-line block ×12, first 2 shown]
	global_load_dwordx4 v[76:79], v76, s[14:15] offset:1512
	s_waitcnt lgkmcnt(14)
	v_lshrrev_b32_e32 v85, 16, v106
	v_lshlrev_b32_e32 v80, 4, v80
	v_lshrrev_b32_e32 v86, 16, v124
	s_waitcnt lgkmcnt(13)
	v_lshrrev_b32_e32 v87, 16, v127
	s_waitcnt lgkmcnt(12)
	v_lshrrev_b32_e32 v138, 16, v128
	v_lshlrev_b32_e32 v84, 4, v84
	s_waitcnt lgkmcnt(11)
	v_lshrrev_b32_e32 v217, 16, v130
	v_lshrrev_b32_e32 v218, 16, v125
	s_waitcnt lgkmcnt(10)
	v_lshrrev_b32_e32 v219, 16, v132
	v_lshrrev_b32_e32 v220, 16, v129
	;; [unrolled: 1-line block ×3, first 2 shown]
	s_waitcnt lgkmcnt(8)
	v_lshrrev_b32_e32 v223, 16, v136
	v_lshrrev_b32_e32 v224, 16, v133
	s_waitcnt lgkmcnt(7)
	v_lshrrev_b32_e32 v225, 16, v200
	s_waitcnt lgkmcnt(6)
	v_lshrrev_b32_e32 v227, 16, v202
	v_lshrrev_b32_e32 v228, 16, v137
	s_waitcnt lgkmcnt(5)
	v_lshrrev_b32_e32 v229, 16, v204
	v_lshrrev_b32_e32 v230, 16, v201
	;; [unrolled: 1-line block ×3, first 2 shown]
	s_waitcnt lgkmcnt(3)
	v_lshrrev_b32_e32 v233, 16, v208
	v_lshrrev_b32_e32 v234, 16, v205
	s_waitcnt lgkmcnt(2)
	v_lshrrev_b32_e32 v235, 16, v210
	s_waitcnt lgkmcnt(1)
	v_lshrrev_b32_e32 v237, 16, v212
	v_lshrrev_b32_e32 v238, 16, v209
	s_waitcnt lgkmcnt(0)
	v_lshrrev_b32_e32 v239, 16, v214
	v_lshrrev_b32_e32 v240, 16, v211
	;; [unrolled: 1-line block ×3, first 2 shown]
	ds_read_b32 v241, v139 offset:7480
	v_lshrrev_b32_e32 v243, 16, v126
	v_lshrrev_b32_e32 v244, 16, v215
	;; [unrolled: 1-line block ×4, first 2 shown]
	s_waitcnt lgkmcnt(0)
	v_lshrrev_b32_e32 v245, 16, v241
	v_lshrrev_b32_e32 v221, 16, v134
	;; [unrolled: 1-line block ×6, first 2 shown]
	s_movk_i32 s12, 0x1000
	s_movk_i32 s13, 0x3a52
	s_waitcnt vmcnt(4)
	v_mul_f16_sdwa v81, v85, v60 dst_sel:DWORD dst_unused:UNUSED_PAD src0_sel:DWORD src1_sel:WORD_1
	v_fma_f16 v246, v106, v60, -v81
	global_load_dwordx4 v[80:83], v80, s[14:15] offset:1512
	v_mul_f16_sdwa v106, v106, v60 dst_sel:DWORD dst_unused:UNUSED_PAD src0_sel:DWORD src1_sel:WORD_1
	v_fma_f16 v106, v85, v60, v106
	v_mul_f16_sdwa v85, v86, v61 dst_sel:DWORD dst_unused:UNUSED_PAD src0_sel:DWORD src1_sel:WORD_1
	v_fma_f16 v247, v124, v61, -v85
	v_mul_f16_sdwa v85, v124, v61 dst_sel:DWORD dst_unused:UNUSED_PAD src0_sel:DWORD src1_sel:WORD_1
	v_fma_f16 v124, v86, v61, v85
	v_mul_f16_sdwa v85, v87, v62 dst_sel:DWORD dst_unused:UNUSED_PAD src0_sel:DWORD src1_sel:WORD_1
	v_fma_f16 v248, v127, v62, -v85
	;; [unrolled: 4-line block ×3, first 2 shown]
	v_mul_f16_sdwa v85, v128, v63 dst_sel:DWORD dst_unused:UNUSED_PAD src0_sel:DWORD src1_sel:WORD_1
	v_fma_f16 v128, v138, v63, v85
	global_load_dwordx4 v[84:87], v84, s[14:15] offset:1512
	s_waitcnt vmcnt(5)
	v_mul_f16_sdwa v138, v217, v64 dst_sel:DWORD dst_unused:UNUSED_PAD src0_sel:DWORD src1_sel:WORD_1
	v_fma_f16 v138, v130, v64, -v138
	v_mul_f16_sdwa v130, v130, v64 dst_sel:DWORD dst_unused:UNUSED_PAD src0_sel:DWORD src1_sel:WORD_1
	v_fma_f16 v130, v217, v64, v130
	v_mul_f16_sdwa v217, v218, v65 dst_sel:DWORD dst_unused:UNUSED_PAD src0_sel:DWORD src1_sel:WORD_1
	v_fma_f16 v217, v125, v65, -v217
	v_mul_f16_sdwa v125, v125, v65 dst_sel:DWORD dst_unused:UNUSED_PAD src0_sel:DWORD src1_sel:WORD_1
	v_fma_f16 v125, v218, v65, v125
	v_mul_f16_sdwa v218, v219, v66 dst_sel:DWORD dst_unused:UNUSED_PAD src0_sel:DWORD src1_sel:WORD_1
	v_fma_f16 v218, v132, v66, -v218
	v_mul_f16_sdwa v132, v132, v66 dst_sel:DWORD dst_unused:UNUSED_PAD src0_sel:DWORD src1_sel:WORD_1
	v_fma_f16 v132, v219, v66, v132
	v_mul_f16_sdwa v219, v220, v67 dst_sel:DWORD dst_unused:UNUSED_PAD src0_sel:DWORD src1_sel:WORD_1
	v_fma_f16 v219, v129, v67, -v219
	v_mul_f16_sdwa v129, v129, v67 dst_sel:DWORD dst_unused:UNUSED_PAD src0_sel:DWORD src1_sel:WORD_1
	v_fma_f16 v129, v220, v67, v129
	s_waitcnt vmcnt(4)
	v_mul_f16_sdwa v220, v222, v68 dst_sel:DWORD dst_unused:UNUSED_PAD src0_sel:DWORD src1_sel:WORD_1
	v_fma_f16 v220, v131, v68, -v220
	v_mul_f16_sdwa v131, v131, v68 dst_sel:DWORD dst_unused:UNUSED_PAD src0_sel:DWORD src1_sel:WORD_1
	v_fma_f16 v131, v222, v68, v131
	v_mul_f16_sdwa v222, v223, v69 dst_sel:DWORD dst_unused:UNUSED_PAD src0_sel:DWORD src1_sel:WORD_1
	v_fma_f16 v222, v136, v69, -v222
	v_mul_f16_sdwa v136, v136, v69 dst_sel:DWORD dst_unused:UNUSED_PAD src0_sel:DWORD src1_sel:WORD_1
	v_fma_f16 v136, v223, v69, v136
	v_mul_f16_sdwa v223, v224, v70 dst_sel:DWORD dst_unused:UNUSED_PAD src0_sel:DWORD src1_sel:WORD_1
	v_fma_f16 v223, v133, v70, -v223
	v_mul_f16_sdwa v133, v133, v70 dst_sel:DWORD dst_unused:UNUSED_PAD src0_sel:DWORD src1_sel:WORD_1
	v_fma_f16 v133, v224, v70, v133
	v_mul_f16_sdwa v224, v225, v71 dst_sel:DWORD dst_unused:UNUSED_PAD src0_sel:DWORD src1_sel:WORD_1
	v_fma_f16 v224, v200, v71, -v224
	v_mul_f16_sdwa v200, v200, v71 dst_sel:DWORD dst_unused:UNUSED_PAD src0_sel:DWORD src1_sel:WORD_1
	v_fma_f16 v200, v225, v71, v200
	;; [unrolled: 17-line block ×5, first 2 shown]
	s_waitcnt vmcnt(0)
	v_mul_f16_sdwa v240, v242, v84 dst_sel:DWORD dst_unused:UNUSED_PAD src0_sel:DWORD src1_sel:WORD_1
	v_fma_f16 v240, v213, v84, -v240
	v_mul_f16_sdwa v213, v213, v84 dst_sel:DWORD dst_unused:UNUSED_PAD src0_sel:DWORD src1_sel:WORD_1
	v_fma_f16 v213, v242, v84, v213
	v_mul_f16_sdwa v242, v243, v85 dst_sel:DWORD dst_unused:UNUSED_PAD src0_sel:DWORD src1_sel:WORD_1
	v_fma_f16 v242, v126, v85, -v242
	v_mul_f16_sdwa v126, v126, v85 dst_sel:DWORD dst_unused:UNUSED_PAD src0_sel:DWORD src1_sel:WORD_1
	v_add_f16_e32 v250, v247, v248
	v_fma_f16 v126, v243, v85, v126
	v_mul_f16_sdwa v243, v244, v86 dst_sel:DWORD dst_unused:UNUSED_PAD src0_sel:DWORD src1_sel:WORD_1
	v_fma_f16 v250, v250, -0.5, v122
	v_sub_f16_e32 v251, v106, v128
	v_fma_f16 v243, v215, v86, -v243
	v_mul_f16_sdwa v215, v215, v86 dst_sel:DWORD dst_unused:UNUSED_PAD src0_sel:DWORD src1_sel:WORD_1
	v_fma_f16 v252, v251, s5, v250
	v_sub_f16_e32 v253, v124, v127
	v_sub_f16_e32 v254, v246, v247
	;; [unrolled: 1-line block ×3, first 2 shown]
	v_fma_f16 v250, v251, s7, v250
	v_fma_f16 v215, v244, v86, v215
	v_mul_f16_sdwa v244, v245, v87 dst_sel:DWORD dst_unused:UNUSED_PAD src0_sel:DWORD src1_sel:WORD_1
	v_fma_f16 v252, v253, s4, v252
	v_add_f16_e32 v254, v254, v255
	v_fma_f16 v250, v253, s16, v250
	v_fma_f16 v244, v241, v87, -v244
	v_mul_f16_sdwa v241, v241, v87 dst_sel:DWORD dst_unused:UNUSED_PAD src0_sel:DWORD src1_sel:WORD_1
	v_fma_f16 v252, v254, s6, v252
	v_fma_f16 v250, v254, s6, v250
	v_add_f16_e32 v254, v246, v249
	v_fma_f16 v241, v245, v87, v241
	v_add_f16_e32 v245, v122, v246
	v_fma_f16 v122, v254, -0.5, v122
	v_fma_f16 v254, v253, s7, v122
	v_fma_f16 v122, v253, s5, v122
	v_add_f16_e32 v245, v245, v247
	v_fma_f16 v254, v251, s4, v254
	v_fma_f16 v122, v251, s16, v122
	v_add_f16_e32 v251, v124, v127
	v_add_f16_e32 v245, v245, v248
	v_sub_f16_e32 v255, v247, v246
	v_fma_f16 v251, v251, -0.5, v118
	v_sub_f16_e32 v246, v246, v249
	v_add_f16_e32 v245, v245, v249
	v_sub_f16_e32 v176, v248, v249
	v_fma_f16 v249, v246, s7, v251
	v_sub_f16_e32 v247, v247, v248
	v_fma_f16 v248, v247, s16, v249
	v_sub_f16_e32 v249, v106, v124
	v_sub_f16_e32 v253, v128, v127
	v_fma_f16 v251, v246, s5, v251
	v_add_f16_e32 v176, v255, v176
	v_add_f16_e32 v249, v249, v253
	v_fma_f16 v251, v247, s4, v251
	v_fma_f16 v254, v176, s6, v254
	;; [unrolled: 1-line block ×3, first 2 shown]
	v_add_f16_e32 v176, v118, v106
	v_fma_f16 v248, v249, s6, v248
	v_fma_f16 v249, v249, s6, v251
	v_add_f16_e32 v251, v106, v128
	v_add_f16_e32 v176, v176, v124
	v_fma_f16 v118, v251, -0.5, v118
	v_add_f16_e32 v176, v176, v127
	v_fma_f16 v251, v247, s5, v118
	v_sub_f16_e32 v106, v124, v106
	v_sub_f16_e32 v124, v127, v128
	v_add_f16_e32 v127, v217, v218
	v_add_f16_e32 v176, v176, v128
	v_fma_f16 v251, v246, s16, v251
	v_add_f16_e32 v106, v106, v124
	v_fma_f16 v118, v247, s7, v118
	v_fma_f16 v127, v127, -0.5, v123
	v_sub_f16_e32 v128, v130, v129
	v_fma_f16 v124, v106, s6, v251
	v_fma_f16 v118, v246, s4, v118
	;; [unrolled: 1-line block ×3, first 2 shown]
	v_sub_f16_e32 v247, v125, v132
	v_sub_f16_e32 v251, v138, v217
	v_sub_f16_e32 v253, v219, v218
	v_fma_f16 v127, v128, s7, v127
	v_fma_f16 v246, v247, s4, v246
	v_add_f16_e32 v251, v251, v253
	v_fma_f16 v127, v247, s16, v127
	v_fma_f16 v246, v251, s6, v246
	v_fma_f16 v127, v251, s6, v127
	v_add_f16_e32 v251, v138, v219
	v_fma_f16 v106, v106, s6, v118
	v_add_f16_e32 v118, v123, v138
	v_fma_f16 v123, v251, -0.5, v123
	v_add_f16_e32 v118, v118, v217
	v_fma_f16 v251, v247, s7, v123
	v_fma_f16 v123, v247, s5, v123
	v_add_f16_e32 v247, v125, v132
	v_add_f16_e32 v118, v118, v218
	v_sub_f16_e32 v253, v217, v138
	v_sub_f16_e32 v255, v218, v219
	v_fma_f16 v247, v247, -0.5, v216
	v_sub_f16_e32 v138, v138, v219
	v_add_f16_e32 v118, v118, v219
	v_fma_f16 v251, v128, s4, v251
	v_add_f16_e32 v253, v253, v255
	v_fma_f16 v123, v128, s16, v123
	v_fma_f16 v219, v138, s7, v247
	v_sub_f16_e32 v217, v217, v218
	v_fma_f16 v251, v253, s6, v251
	v_fma_f16 v123, v253, s6, v123
	v_fma_f16 v218, v217, s16, v219
	v_sub_f16_e32 v219, v130, v125
	v_sub_f16_e32 v253, v129, v132
	v_fma_f16 v247, v138, s5, v247
	v_add_f16_e32 v128, v216, v130
	v_add_f16_e32 v219, v219, v253
	v_fma_f16 v247, v217, s4, v247
	v_add_f16_e32 v128, v128, v125
	v_fma_f16 v218, v219, s6, v218
	v_fma_f16 v219, v219, s6, v247
	v_add_f16_e32 v247, v130, v129
	v_add_f16_e32 v128, v128, v132
	v_fma_f16 v216, v247, -0.5, v216
	v_add_f16_e32 v128, v128, v129
	v_fma_f16 v247, v217, s5, v216
	v_sub_f16_e32 v125, v125, v130
	v_sub_f16_e32 v129, v132, v129
	v_fma_f16 v130, v217, s7, v216
	v_add_f16_e32 v132, v222, v223
	v_fma_f16 v247, v138, s16, v247
	v_add_f16_e32 v125, v125, v129
	v_fma_f16 v130, v138, s4, v130
	v_fma_f16 v132, v132, -0.5, v134
	v_sub_f16_e32 v138, v131, v200
	v_fma_f16 v129, v125, s6, v247
	v_fma_f16 v216, v138, s5, v132
	v_sub_f16_e32 v217, v136, v133
	v_sub_f16_e32 v247, v220, v222
	v_sub_f16_e32 v253, v224, v223
	v_fma_f16 v132, v138, s7, v132
	v_fma_f16 v216, v217, s4, v216
	v_add_f16_e32 v247, v247, v253
	v_fma_f16 v132, v217, s16, v132
	v_fma_f16 v216, v247, s6, v216
	v_fma_f16 v132, v247, s6, v132
	v_add_f16_e32 v247, v220, v224
	v_fma_f16 v125, v125, s6, v130
	v_add_f16_e32 v130, v134, v220
	v_fma_f16 v134, v247, -0.5, v134
	v_add_f16_e32 v130, v130, v222
	v_fma_f16 v247, v217, s7, v134
	v_fma_f16 v134, v217, s5, v134
	v_add_f16_e32 v217, v136, v133
	v_add_f16_e32 v130, v130, v223
	v_sub_f16_e32 v253, v222, v220
	v_sub_f16_e32 v255, v223, v224
	v_fma_f16 v217, v217, -0.5, v221
	v_sub_f16_e32 v220, v220, v224
	v_add_f16_e32 v130, v130, v224
	v_fma_f16 v247, v138, s4, v247
	v_add_f16_e32 v253, v253, v255
	v_fma_f16 v134, v138, s16, v134
	v_fma_f16 v224, v220, s7, v217
	v_sub_f16_e32 v222, v222, v223
	v_fma_f16 v247, v253, s6, v247
	v_fma_f16 v134, v253, s6, v134
	v_fma_f16 v223, v222, s16, v224
	v_sub_f16_e32 v224, v131, v136
	v_sub_f16_e32 v253, v200, v133
	v_fma_f16 v217, v220, s5, v217
	v_add_f16_e32 v138, v221, v131
	v_add_f16_e32 v224, v224, v253
	v_fma_f16 v217, v222, s4, v217
	v_add_f16_e32 v138, v138, v136
	v_fma_f16 v223, v224, s6, v223
	v_fma_f16 v217, v224, s6, v217
	v_add_f16_e32 v224, v131, v200
	v_add_f16_e32 v138, v138, v133
	v_fma_f16 v221, v224, -0.5, v221
	v_add_f16_e32 v138, v138, v200
	v_fma_f16 v224, v222, s5, v221
	v_sub_f16_e32 v131, v136, v131
	v_sub_f16_e32 v133, v133, v200
	v_fma_f16 v136, v222, s7, v221
	v_add_f16_e32 v200, v227, v228
	v_fma_f16 v224, v220, s16, v224
	v_add_f16_e32 v131, v131, v133
	v_fma_f16 v136, v220, s4, v136
	v_fma_f16 v200, v200, -0.5, v135
	v_sub_f16_e32 v220, v202, v201
	v_fma_f16 v133, v131, s6, v224
	v_fma_f16 v221, v220, s5, v200
	;; [unrolled: 56-line block ×5, first 2 shown]
	v_sub_f16_e32 v237, v126, v215
	v_sub_f16_e32 v239, v240, v242
	;; [unrolled: 1-line block ×3, first 2 shown]
	v_fma_f16 v214, v235, s7, v214
	v_fma_f16 v236, v237, s4, v236
	v_add_f16_e32 v239, v239, v253
	v_fma_f16 v214, v237, s16, v214
	v_fma_f16 v236, v239, s6, v236
	;; [unrolled: 1-line block ×3, first 2 shown]
	v_add_f16_e32 v239, v240, v244
	v_fma_f16 v209, v209, s6, v212
	v_add_f16_e32 v212, v105, v240
	v_fma_f16 v105, v239, -0.5, v105
	v_add_f16_e32 v212, v212, v242
	v_fma_f16 v239, v237, s7, v105
	v_fma_f16 v105, v237, s5, v105
	v_add_f16_e32 v237, v126, v215
	v_add_f16_e32 v212, v212, v243
	v_sub_f16_e32 v253, v242, v240
	v_sub_f16_e32 v255, v243, v244
	v_fma_f16 v237, v237, -0.5, v117
	v_sub_f16_e32 v240, v240, v244
	v_add_f16_e32 v212, v212, v244
	v_fma_f16 v239, v235, s4, v239
	v_add_f16_e32 v253, v253, v255
	v_fma_f16 v105, v235, s16, v105
	v_fma_f16 v244, v240, s7, v237
	v_sub_f16_e32 v242, v242, v243
	v_fma_f16 v239, v253, s6, v239
	v_fma_f16 v105, v253, s6, v105
	v_fma_f16 v243, v242, s16, v244
	v_sub_f16_e32 v244, v213, v126
	v_sub_f16_e32 v253, v241, v215
	v_fma_f16 v237, v240, s5, v237
	v_add_f16_e32 v244, v244, v253
	v_fma_f16 v237, v242, s4, v237
	v_fma_f16 v243, v244, s6, v243
	;; [unrolled: 1-line block ×3, first 2 shown]
	v_add_f16_e32 v244, v213, v241
	v_add_f16_e32 v235, v117, v213
	v_fma_f16 v117, v244, -0.5, v117
	v_add_f16_e32 v235, v235, v126
	v_fma_f16 v244, v242, s5, v117
	v_sub_f16_e32 v126, v126, v213
	v_sub_f16_e32 v213, v215, v241
	v_fma_f16 v117, v242, s7, v117
	v_pack_b32_f16 v106, v122, v106
	v_fma_f16 v244, v240, s16, v244
	v_add_f16_e32 v126, v126, v213
	v_fma_f16 v117, v240, s4, v117
	ds_write_b32 v139, v106 offset:4620
	v_pack_b32_f16 v106, v250, v249
	v_fma_f16 v213, v126, s6, v244
	v_fma_f16 v117, v126, s6, v117
	v_pack_b32_f16 v126, v245, v176
	v_pack_b32_f16 v176, v252, v248
	;; [unrolled: 1-line block ×3, first 2 shown]
	ds_write_b32 v139, v106 offset:6160
	v_pack_b32_f16 v106, v118, v128
	ds_write_b32 v139, v176 offset:1540
	ds_write_b32 v139, v124 offset:3080
	ds_write2_b32 v139, v126, v106 offset1:55
	v_pack_b32_f16 v106, v246, v218
	v_pack_b32_f16 v122, v123, v125
	;; [unrolled: 1-line block ×4, first 2 shown]
	ds_write2_b32 v113, v106, v125 offset0:184 offset1:239
	v_pack_b32_f16 v106, v247, v133
	ds_write2_b32 v119, v118, v106 offset0:57 offset1:112
	v_pack_b32_f16 v106, v134, v131
	v_pack_b32_f16 v123, v127, v219
	ds_write2_b32 v112, v122, v106 offset0:186 offset1:241
	v_pack_b32_f16 v106, v132, v217
	;; [unrolled: 3-line block ×3, first 2 shown]
	v_pack_b32_f16 v118, v224, v201
	ds_write2_b32 v139, v124, v106 offset0:110 offset1:165
	ds_write_b32 v139, v118 offset:3740
	v_pack_b32_f16 v118, v135, v137
	v_pack_b32_f16 v106, v221, v228
	ds_write_b32 v139, v118 offset:5280
	v_pack_b32_f16 v118, v200, v222
	v_pack_b32_f16 v122, v226, v233
	ds_write_b32 v139, v118 offset:6820
	ds_write2_b32 v198, v106, v122 offset0:38 offset1:93
	v_pack_b32_f16 v122, v206, v203
	ds_write_b32 v139, v122 offset:5500
	v_pack_b32_f16 v122, v204, v227
	v_pack_b32_f16 v118, v202, v225
	ds_write_b32 v139, v122 offset:7040
	v_pack_b32_f16 v122, v208, v230
	v_pack_b32_f16 v106, v229, v205
	ds_write2_b32 v199, v118, v122 offset0:92 offset1:147
	v_pack_b32_f16 v122, v234, v211
	v_add_f16_e32 v235, v235, v215
	ds_write2_b32 v114, v106, v122 offset0:94 offset1:149
	v_pack_b32_f16 v106, v207, v209
	v_add_f16_e32 v235, v235, v241
	ds_write_b32 v139, v106 offset:5720
	v_pack_b32_f16 v106, v210, v232
	ds_write_b32 v139, v106 offset:7260
	v_pack_b32_f16 v106, v212, v235
	v_pack_b32_f16 v118, v231, v238
	ds_write_b32 v139, v106 offset:1320
	v_pack_b32_f16 v106, v236, v243
	v_pack_b32_f16 v105, v105, v117
	ds_write2_b32 v198, v118, v106 offset0:148 offset1:203
	ds_write_b32 v139, v105 offset:5940
	v_pack_b32_f16 v105, v214, v237
	v_pack_b32_f16 v106, v239, v213
	ds_write_b32 v139, v105 offset:7480
	v_add_co_u32_e32 v105, vcc, s12, v115
	ds_write_b32 v139, v106 offset:4400
	v_addc_co_u32_e32 v106, vcc, 0, v116, vcc
	s_waitcnt lgkmcnt(0)
	; wave barrier
	s_waitcnt lgkmcnt(0)
	global_load_dword v124, v[105:106], off offset:3604
	s_movk_i32 s4, 0x1e14
	v_add_co_u32_e32 v105, vcc, s4, v115
	v_addc_co_u32_e32 v106, vcc, 0, v116, vcc
	global_load_dword v126, v[105:106], off offset:1100
	global_load_dword v127, v[105:106], off offset:2200
	global_load_dword v128, v[105:106], off offset:3300
	s_movk_i32 s4, 0x2000
	v_add_co_u32_e32 v117, vcc, s4, v115
	v_addc_co_u32_e32 v118, vcc, 0, v116, vcc
	global_load_dword v130, v[117:118], off offset:3908
	s_movk_i32 s4, 0x3000
	v_add_co_u32_e32 v115, vcc, s4, v115
	v_addc_co_u32_e32 v116, vcc, 0, v116, vcc
	global_load_dword v132, v[115:116], off offset:912
	global_load_dword v133, v[115:116], off offset:2012
	;; [unrolled: 1-line block ×3, first 2 shown]
	ds_read2_b32 v[122:123], v139 offset1:55
	global_load_dword v135, v[105:106], off offset:1320
	global_load_dword v136, v[115:116], off offset:32
	;; [unrolled: 1-line block ×7, first 2 shown]
	s_movk_i32 s14, 0x39e0
	s_mov_b32 s15, 0xbb00
	s_waitcnt lgkmcnt(0)
	v_lshrrev_b32_e32 v125, 16, v122
	s_movk_i32 s16, 0x3cab
	s_movk_i32 s6, 0x2b26
	;; [unrolled: 1-line block ×3, first 2 shown]
	s_mov_b32 s5, 0xb70e
	s_mov_b32 s12, 0xb574
	;; [unrolled: 1-line block ×3, first 2 shown]
	s_waitcnt vmcnt(14)
	v_mul_f16_sdwa v117, v125, v124 dst_sel:DWORD dst_unused:UNUSED_PAD src0_sel:DWORD src1_sel:WORD_1
	v_mul_f16_sdwa v118, v122, v124 dst_sel:DWORD dst_unused:UNUSED_PAD src0_sel:DWORD src1_sel:WORD_1
	v_fma_f16 v117, v122, v124, -v117
	v_fma_f16 v118, v125, v124, v118
	v_pack_b32_f16 v117, v117, v118
	ds_write_b32 v139, v117
	ds_read2_b32 v[117:118], v199 offset0:92 offset1:147
	global_load_dword v202, v[105:106], off offset:3740
	global_load_dword v203, v[105:106], off offset:3520
	;; [unrolled: 1-line block ×7, first 2 shown]
	ds_read2_b32 v[124:125], v198 offset0:38 offset1:93
	global_load_dword v209, v[115:116], off offset:1132
	global_load_dword v210, v[105:106], off offset:2640
	global_load_dword v211, v[105:106], off offset:2860
	global_load_dword v212, v[105:106], off offset:3080
	global_load_dword v213, v[105:106], off offset:1980
	global_load_dword v214, v[115:116], off offset:2232
	s_waitcnt lgkmcnt(1)
	v_lshrrev_b32_e32 v122, 16, v118
	s_waitcnt vmcnt(26)
	v_mul_f16_sdwa v129, v122, v126 dst_sel:DWORD dst_unused:UNUSED_PAD src0_sel:DWORD src1_sel:WORD_1
	v_fma_f16 v129, v118, v126, -v129
	v_mul_f16_sdwa v118, v118, v126 dst_sel:DWORD dst_unused:UNUSED_PAD src0_sel:DWORD src1_sel:WORD_1
	ds_read2_b32 v[105:106], v119 offset0:2 offset1:57
	v_fma_f16 v118, v122, v126, v118
	s_waitcnt lgkmcnt(1)
	v_lshrrev_b32_e32 v122, 16, v124
	s_waitcnt vmcnt(25)
	v_mul_f16_sdwa v126, v122, v127 dst_sel:DWORD dst_unused:UNUSED_PAD src0_sel:DWORD src1_sel:WORD_1
	v_fma_f16 v126, v124, v127, -v126
	v_mul_f16_sdwa v124, v124, v127 dst_sel:DWORD dst_unused:UNUSED_PAD src0_sel:DWORD src1_sel:WORD_1
	v_fma_f16 v122, v122, v127, v124
	v_pack_b32_f16 v215, v126, v122
	s_waitcnt lgkmcnt(0)
	v_lshrrev_b32_e32 v122, 16, v106
	s_waitcnt vmcnt(24)
	v_mul_f16_sdwa v124, v122, v128 dst_sel:DWORD dst_unused:UNUSED_PAD src0_sel:DWORD src1_sel:WORD_1
	ds_read2_b32 v[126:127], v112 offset0:76 offset1:131
	v_fma_f16 v124, v106, v128, -v124
	v_mul_f16_sdwa v106, v106, v128 dst_sel:DWORD dst_unused:UNUSED_PAD src0_sel:DWORD src1_sel:WORD_1
	v_pack_b32_f16 v118, v129, v118
	v_fma_f16 v106, v122, v128, v106
	ds_read2_b32 v[128:129], v120 offset0:40 offset1:95
	global_load_dword v217, v[115:116], off offset:1352
	global_load_dword v218, v[115:116], off offset:1572
	;; [unrolled: 1-line block ×4, first 2 shown]
	s_waitcnt lgkmcnt(1)
	v_lshrrev_b32_e32 v122, 16, v126
	v_pack_b32_f16 v106, v124, v106
	s_waitcnt vmcnt(27)
	v_mul_f16_sdwa v124, v122, v130 dst_sel:DWORD dst_unused:UNUSED_PAD src0_sel:DWORD src1_sel:WORD_1
	v_fma_f16 v124, v126, v130, -v124
	v_mul_f16_sdwa v126, v126, v130 dst_sel:DWORD dst_unused:UNUSED_PAD src0_sel:DWORD src1_sel:WORD_1
	v_fma_f16 v122, v122, v130, v126
	ds_read2_b32 v[130:131], v197 offset0:114 offset1:169
	v_pack_b32_f16 v216, v124, v122
	s_waitcnt lgkmcnt(1)
	v_lshrrev_b32_e32 v122, 16, v129
	s_waitcnt vmcnt(26)
	v_mul_f16_sdwa v124, v122, v132 dst_sel:DWORD dst_unused:UNUSED_PAD src0_sel:DWORD src1_sel:WORD_1
	v_mul_f16_sdwa v126, v129, v132 dst_sel:DWORD dst_unused:UNUSED_PAD src0_sel:DWORD src1_sel:WORD_1
	v_fma_f16 v124, v129, v132, -v124
	v_fma_f16 v122, v122, v132, v126
	v_pack_b32_f16 v126, v124, v122
	s_waitcnt lgkmcnt(0)
	v_lshrrev_b32_e32 v122, 16, v130
	s_waitcnt vmcnt(25)
	v_mul_f16_sdwa v124, v122, v133 dst_sel:DWORD dst_unused:UNUSED_PAD src0_sel:DWORD src1_sel:WORD_1
	v_mul_f16_sdwa v129, v130, v133 dst_sel:DWORD dst_unused:UNUSED_PAD src0_sel:DWORD src1_sel:WORD_1
	v_fma_f16 v124, v130, v133, -v124
	v_fma_f16 v122, v122, v133, v129
	v_pack_b32_f16 v133, v124, v122
	v_lshrrev_b32_e32 v122, 16, v123
	s_waitcnt vmcnt(24)
	v_mul_f16_sdwa v124, v122, v134 dst_sel:DWORD dst_unused:UNUSED_PAD src0_sel:DWORD src1_sel:WORD_1
	v_fma_f16 v124, v123, v134, -v124
	v_mul_f16_sdwa v123, v123, v134 dst_sel:DWORD dst_unused:UNUSED_PAD src0_sel:DWORD src1_sel:WORD_1
	v_fma_f16 v122, v122, v134, v123
	global_load_dword v134, v[115:116], off offset:2452
	ds_read2_b32 v[129:130], v113 offset0:74 offset1:129
	v_pack_b32_f16 v132, v124, v122
	s_waitcnt lgkmcnt(0)
	v_lshrrev_b32_e32 v122, 16, v129
	s_waitcnt vmcnt(24)
	v_mul_f16_sdwa v123, v122, v135 dst_sel:DWORD dst_unused:UNUSED_PAD src0_sel:DWORD src1_sel:WORD_1
	v_mul_f16_sdwa v124, v129, v135 dst_sel:DWORD dst_unused:UNUSED_PAD src0_sel:DWORD src1_sel:WORD_1
	v_fma_f16 v123, v129, v135, -v123
	v_fma_f16 v122, v122, v135, v124
	global_load_dword v135, v[115:116], off offset:2672
	v_pack_b32_f16 v122, v123, v122
	ds_write2_b32 v113, v118, v122 offset0:19 offset1:74
	ds_read2_b32 v[122:123], v119 offset0:112 offset1:167
	v_lshrrev_b32_e32 v118, 16, v125
	s_waitcnt vmcnt(19)
	v_mul_f16_sdwa v124, v118, v201 dst_sel:DWORD dst_unused:UNUSED_PAD src0_sel:DWORD src1_sel:WORD_1
	v_fma_f16 v124, v125, v201, -v124
	v_mul_f16_sdwa v125, v125, v201 dst_sel:DWORD dst_unused:UNUSED_PAD src0_sel:DWORD src1_sel:WORD_1
	v_fma_f16 v118, v118, v201, v125
	v_pack_b32_f16 v118, v124, v118
	s_waitcnt lgkmcnt(0)
	v_lshrrev_b32_e32 v124, 16, v122
	v_add_u32_e32 v201, 0x1600, v139
	s_waitcnt vmcnt(17)
	v_mul_f16_sdwa v125, v124, v203 dst_sel:DWORD dst_unused:UNUSED_PAD src0_sel:DWORD src1_sel:WORD_1
	v_fma_f16 v125, v122, v203, -v125
	v_mul_f16_sdwa v122, v122, v203 dst_sel:DWORD dst_unused:UNUSED_PAD src0_sel:DWORD src1_sel:WORD_1
	v_fma_f16 v122, v124, v203, v122
	v_pack_b32_f16 v122, v125, v122
	ds_read2_b32 v[124:125], v120 offset0:150 offset1:205
	ds_write2_b32 v119, v106, v122 offset0:57 offset1:112
	v_lshrrev_b32_e32 v106, 16, v127
	v_mul_f16_sdwa v122, v106, v136 dst_sel:DWORD dst_unused:UNUSED_PAD src0_sel:DWORD src1_sel:WORD_1
	v_fma_f16 v122, v127, v136, -v122
	v_mul_f16_sdwa v127, v127, v136 dst_sel:DWORD dst_unused:UNUSED_PAD src0_sel:DWORD src1_sel:WORD_1
	v_fma_f16 v106, v106, v136, v127
	v_pack_b32_f16 v106, v122, v106
	s_waitcnt lgkmcnt(1)
	v_lshrrev_b32_e32 v122, 16, v124
	s_waitcnt vmcnt(11)
	v_mul_f16_sdwa v127, v122, v209 dst_sel:DWORD dst_unused:UNUSED_PAD src0_sel:DWORD src1_sel:WORD_1
	v_fma_f16 v127, v124, v209, -v127
	v_mul_f16_sdwa v124, v124, v209 dst_sel:DWORD dst_unused:UNUSED_PAD src0_sel:DWORD src1_sel:WORD_1
	v_fma_f16 v122, v122, v209, v124
	v_pack_b32_f16 v122, v127, v122
	ds_write2_b32 v120, v126, v122 offset0:95 offset1:150
	ds_read2_b32 v[126:127], v139 offset0:110 offset1:165
	v_lshrrev_b32_e32 v122, 16, v131
	s_waitcnt vmcnt(6)
	v_mul_f16_sdwa v124, v122, v214 dst_sel:DWORD dst_unused:UNUSED_PAD src0_sel:DWORD src1_sel:WORD_1
	v_mul_f16_sdwa v129, v131, v214 dst_sel:DWORD dst_unused:UNUSED_PAD src0_sel:DWORD src1_sel:WORD_1
	v_fma_f16 v124, v131, v214, -v124
	v_fma_f16 v122, v122, v214, v129
	v_pack_b32_f16 v124, v124, v122
	s_waitcnt lgkmcnt(0)
	v_lshrrev_b32_e32 v122, 16, v126
	v_mul_f16_sdwa v129, v122, v204 dst_sel:DWORD dst_unused:UNUSED_PAD src0_sel:DWORD src1_sel:WORD_1
	v_fma_f16 v129, v126, v204, -v129
	v_mul_f16_sdwa v126, v126, v204 dst_sel:DWORD dst_unused:UNUSED_PAD src0_sel:DWORD src1_sel:WORD_1
	v_fma_f16 v122, v122, v204, v126
	v_pack_b32_f16 v122, v129, v122
	ds_write2_b32 v139, v132, v122 offset0:55 offset1:110
	ds_read2_b32 v[131:132], v198 offset0:148 offset1:203
	v_lshrrev_b32_e32 v122, 16, v130
	v_mul_f16_sdwa v126, v122, v206 dst_sel:DWORD dst_unused:UNUSED_PAD src0_sel:DWORD src1_sel:WORD_1
	v_mul_f16_sdwa v129, v130, v206 dst_sel:DWORD dst_unused:UNUSED_PAD src0_sel:DWORD src1_sel:WORD_1
	v_fma_f16 v126, v130, v206, -v126
	v_fma_f16 v122, v122, v206, v129
	v_pack_b32_f16 v126, v126, v122
	s_waitcnt lgkmcnt(0)
	v_lshrrev_b32_e32 v122, 16, v131
	v_mul_f16_sdwa v129, v122, v210 dst_sel:DWORD dst_unused:UNUSED_PAD src0_sel:DWORD src1_sel:WORD_1
	v_mul_f16_sdwa v130, v131, v210 dst_sel:DWORD dst_unused:UNUSED_PAD src0_sel:DWORD src1_sel:WORD_1
	v_fma_f16 v129, v131, v210, -v129
	v_fma_f16 v122, v122, v210, v130
	v_pack_b32_f16 v122, v129, v122
	ds_read2_b32 v[129:130], v112 offset0:186 offset1:241
	ds_write2_b32 v198, v118, v122 offset0:93 offset1:148
	v_lshrrev_b32_e32 v118, 16, v123
	v_mul_f16_sdwa v122, v118, v202 dst_sel:DWORD dst_unused:UNUSED_PAD src0_sel:DWORD src1_sel:WORD_1
	v_fma_f16 v122, v123, v202, -v122
	v_mul_f16_sdwa v123, v123, v202 dst_sel:DWORD dst_unused:UNUSED_PAD src0_sel:DWORD src1_sel:WORD_1
	v_fma_f16 v118, v118, v202, v123
	v_pack_b32_f16 v118, v122, v118
	s_waitcnt lgkmcnt(1)
	v_lshrrev_b32_e32 v122, 16, v129
	v_mul_f16_sdwa v123, v122, v137 dst_sel:DWORD dst_unused:UNUSED_PAD src0_sel:DWORD src1_sel:WORD_1
	v_fma_f16 v123, v129, v137, -v123
	v_mul_f16_sdwa v129, v129, v137 dst_sel:DWORD dst_unused:UNUSED_PAD src0_sel:DWORD src1_sel:WORD_1
	v_fma_f16 v122, v122, v137, v129
	v_pack_b32_f16 v122, v123, v122
	ds_write2_b32 v112, v106, v122 offset0:131 offset1:186
	v_lshrrev_b32_e32 v106, 16, v125
	s_waitcnt vmcnt(5)
	v_mul_f16_sdwa v129, v106, v217 dst_sel:DWORD dst_unused:UNUSED_PAD src0_sel:DWORD src1_sel:WORD_1
	v_fma_f16 v129, v125, v217, -v129
	v_mul_f16_sdwa v125, v125, v217 dst_sel:DWORD dst_unused:UNUSED_PAD src0_sel:DWORD src1_sel:WORD_1
	v_fma_f16 v106, v106, v217, v125
	v_pack_b32_f16 v106, v129, v106
	global_load_dword v129, v[115:116], off offset:2892
	ds_read2_b32 v[122:123], v121 offset0:96 offset1:151
	v_add_u32_e32 v203, 0x600, v139
	v_add_u32_e32 v202, 0x1200, v139
	s_waitcnt lgkmcnt(0)
	v_lshrrev_b32_e32 v125, 16, v122
	s_waitcnt vmcnt(2)
	v_mul_f16_sdwa v115, v125, v134 dst_sel:DWORD dst_unused:UNUSED_PAD src0_sel:DWORD src1_sel:WORD_1
	v_mul_f16_sdwa v116, v122, v134 dst_sel:DWORD dst_unused:UNUSED_PAD src0_sel:DWORD src1_sel:WORD_1
	v_fma_f16 v115, v122, v134, -v115
	v_fma_f16 v116, v125, v134, v116
	v_pack_b32_f16 v115, v115, v116
	ds_write2_b32 v197, v124, v115 offset0:169 offset1:224
	ds_read2_b32 v[115:116], v113 offset0:184 offset1:239
	v_lshrrev_b32_e32 v122, 16, v127
	v_mul_f16_sdwa v124, v122, v205 dst_sel:DWORD dst_unused:UNUSED_PAD src0_sel:DWORD src1_sel:WORD_1
	v_mul_f16_sdwa v125, v127, v205 dst_sel:DWORD dst_unused:UNUSED_PAD src0_sel:DWORD src1_sel:WORD_1
	v_fma_f16 v124, v127, v205, -v124
	v_fma_f16 v122, v122, v205, v125
	v_pack_b32_f16 v122, v124, v122
	s_waitcnt lgkmcnt(0)
	v_lshrrev_b32_e32 v124, 16, v115
	v_mul_f16_sdwa v125, v124, v207 dst_sel:DWORD dst_unused:UNUSED_PAD src0_sel:DWORD src1_sel:WORD_1
	v_fma_f16 v125, v115, v207, -v125
	v_mul_f16_sdwa v115, v115, v207 dst_sel:DWORD dst_unused:UNUSED_PAD src0_sel:DWORD src1_sel:WORD_1
	v_fma_f16 v115, v124, v207, v115
	v_pack_b32_f16 v115, v125, v115
	ds_read2_b32 v[124:125], v114 offset0:94 offset1:149
	ds_write2_b32 v113, v126, v115 offset0:129 offset1:184
	v_lshrrev_b32_e32 v115, 16, v132
	v_mul_f16_sdwa v126, v115, v211 dst_sel:DWORD dst_unused:UNUSED_PAD src0_sel:DWORD src1_sel:WORD_1
	v_mul_f16_sdwa v127, v132, v211 dst_sel:DWORD dst_unused:UNUSED_PAD src0_sel:DWORD src1_sel:WORD_1
	v_fma_f16 v126, v132, v211, -v126
	v_fma_f16 v115, v115, v211, v127
	v_pack_b32_f16 v115, v126, v115
	s_waitcnt lgkmcnt(1)
	v_lshrrev_b32_e32 v126, 16, v124
	v_mul_f16_sdwa v127, v126, v200 dst_sel:DWORD dst_unused:UNUSED_PAD src0_sel:DWORD src1_sel:WORD_1
	v_fma_f16 v127, v124, v200, -v127
	v_mul_f16_sdwa v124, v124, v200 dst_sel:DWORD dst_unused:UNUSED_PAD src0_sel:DWORD src1_sel:WORD_1
	v_fma_f16 v124, v126, v200, v124
	v_pack_b32_f16 v124, v127, v124
	ds_read2_b32 v[126:127], v197 offset0:4 offset1:59
	ds_write2_b32 v119, v118, v124 offset0:167 offset1:222
	v_lshrrev_b32_e32 v118, 16, v130
	v_mul_f16_sdwa v124, v118, v138 dst_sel:DWORD dst_unused:UNUSED_PAD src0_sel:DWORD src1_sel:WORD_1
	v_fma_f16 v124, v130, v138, -v124
	v_mul_f16_sdwa v130, v130, v138 dst_sel:DWORD dst_unused:UNUSED_PAD src0_sel:DWORD src1_sel:WORD_1
	v_fma_f16 v118, v118, v138, v130
	v_pack_b32_f16 v118, v124, v118
	s_waitcnt lgkmcnt(1)
	v_lshrrev_b32_e32 v124, 16, v126
	v_mul_f16_sdwa v130, v124, v218 dst_sel:DWORD dst_unused:UNUSED_PAD src0_sel:DWORD src1_sel:WORD_1
	v_fma_f16 v130, v126, v218, -v130
	v_mul_f16_sdwa v126, v126, v218 dst_sel:DWORD dst_unused:UNUSED_PAD src0_sel:DWORD src1_sel:WORD_1
	v_fma_f16 v124, v124, v218, v126
	v_pack_b32_f16 v124, v130, v124
	ds_write2_b32 v201, v106, v124 offset0:77 offset1:132
	v_lshrrev_b32_e32 v106, 16, v123
	s_waitcnt vmcnt(1)
	v_mul_f16_sdwa v124, v106, v135 dst_sel:DWORD dst_unused:UNUSED_PAD src0_sel:DWORD src1_sel:WORD_1
	v_fma_f16 v124, v123, v135, -v124
	v_mul_f16_sdwa v123, v123, v135 dst_sel:DWORD dst_unused:UNUSED_PAD src0_sel:DWORD src1_sel:WORD_1
	v_fma_f16 v106, v106, v135, v123
	v_lshrrev_b32_e32 v123, 16, v117
	v_pack_b32_f16 v106, v124, v106
	v_mul_f16_sdwa v124, v123, v208 dst_sel:DWORD dst_unused:UNUSED_PAD src0_sel:DWORD src1_sel:WORD_1
	v_fma_f16 v124, v117, v208, -v124
	v_mul_f16_sdwa v117, v117, v208 dst_sel:DWORD dst_unused:UNUSED_PAD src0_sel:DWORD src1_sel:WORD_1
	v_fma_f16 v117, v123, v208, v117
	v_pack_b32_f16 v117, v124, v117
	ds_write2_b32 v139, v122, v117 offset0:165 offset1:220
	v_lshrrev_b32_e32 v117, 16, v116
	v_mul_f16_sdwa v122, v117, v213 dst_sel:DWORD dst_unused:UNUSED_PAD src0_sel:DWORD src1_sel:WORD_1
	v_fma_f16 v122, v116, v213, -v122
	v_mul_f16_sdwa v116, v116, v213 dst_sel:DWORD dst_unused:UNUSED_PAD src0_sel:DWORD src1_sel:WORD_1
	v_fma_f16 v116, v117, v213, v116
	v_pack_b32_f16 v116, v122, v116
	ds_write2_b32 v203, v116, v215 offset0:111 offset1:166
	v_lshrrev_b32_e32 v116, 16, v105
	v_mul_f16_sdwa v117, v116, v212 dst_sel:DWORD dst_unused:UNUSED_PAD src0_sel:DWORD src1_sel:WORD_1
	v_fma_f16 v117, v105, v212, -v117
	v_mul_f16_sdwa v105, v105, v212 dst_sel:DWORD dst_unused:UNUSED_PAD src0_sel:DWORD src1_sel:WORD_1
	v_fma_f16 v105, v116, v212, v105
	v_pack_b32_f16 v105, v117, v105
	v_add_u32_e32 v116, 0xa00, v139
	ds_write2_b32 v116, v115, v105 offset0:75 offset1:130
	v_lshrrev_b32_e32 v105, 16, v125
	v_mul_f16_sdwa v115, v105, v176 dst_sel:DWORD dst_unused:UNUSED_PAD src0_sel:DWORD src1_sel:WORD_1
	v_mul_f16_sdwa v116, v125, v176 dst_sel:DWORD dst_unused:UNUSED_PAD src0_sel:DWORD src1_sel:WORD_1
	v_fma_f16 v115, v125, v176, -v115
	v_fma_f16 v105, v105, v176, v116
	v_pack_b32_f16 v105, v115, v105
	ds_write2_b32 v112, v105, v216 offset0:21 offset1:76
	v_lshrrev_b32_e32 v105, 16, v128
	v_mul_f16_sdwa v115, v105, v220 dst_sel:DWORD dst_unused:UNUSED_PAD src0_sel:DWORD src1_sel:WORD_1
	v_mul_f16_sdwa v116, v128, v220 dst_sel:DWORD dst_unused:UNUSED_PAD src0_sel:DWORD src1_sel:WORD_1
	v_fma_f16 v115, v128, v220, -v115
	v_fma_f16 v105, v105, v220, v116
	v_pack_b32_f16 v105, v115, v105
	ds_read_b32 v116, v139 offset:7480
	ds_write2_b32 v202, v118, v105 offset0:113 offset1:168
	v_lshrrev_b32_e32 v105, 16, v127
	v_mul_f16_sdwa v115, v105, v219 dst_sel:DWORD dst_unused:UNUSED_PAD src0_sel:DWORD src1_sel:WORD_1
	v_mul_f16_sdwa v117, v127, v219 dst_sel:DWORD dst_unused:UNUSED_PAD src0_sel:DWORD src1_sel:WORD_1
	v_fma_f16 v115, v127, v219, -v115
	v_fma_f16 v105, v105, v219, v117
	v_pack_b32_f16 v105, v115, v105
	ds_write2_b32 v197, v105, v133 offset0:59 offset1:114
	s_waitcnt lgkmcnt(2)
	v_lshrrev_b32_e32 v105, 16, v116
	s_waitcnt vmcnt(0)
	v_mul_f16_sdwa v115, v105, v129 dst_sel:DWORD dst_unused:UNUSED_PAD src0_sel:DWORD src1_sel:WORD_1
	v_fma_f16 v115, v116, v129, -v115
	v_mul_f16_sdwa v116, v116, v129 dst_sel:DWORD dst_unused:UNUSED_PAD src0_sel:DWORD src1_sel:WORD_1
	v_fma_f16 v105, v105, v129, v116
	v_pack_b32_f16 v105, v115, v105
	v_add_u32_e32 v115, 0x1c00, v139
	ds_write2_b32 v115, v106, v105 offset0:23 offset1:78
	s_waitcnt lgkmcnt(0)
	; wave barrier
	s_waitcnt lgkmcnt(0)
	ds_read2_b32 v[105:106], v113 offset0:74 offset1:129
	ds_read2_b32 v[115:116], v198 offset0:38 offset1:93
	;; [unrolled: 1-line block ×6, first 2 shown]
	ds_read2_b32 v[128:129], v139 offset1:55
	s_waitcnt lgkmcnt(3)
	v_pk_add_f16 v130, v105, v123
	s_waitcnt lgkmcnt(2)
	v_pk_add_f16 v131, v116, v124
	;; [unrolled: 2-line block ×3, first 2 shown]
	v_pk_add_f16 v133, v131, v130
	v_pk_add_f16 v105, v105, v123 neg_lo:[0,1] neg_hi:[0,1]
	v_pk_add_f16 v116, v116, v124 neg_lo:[0,1] neg_hi:[0,1]
	v_pk_add_f16 v133, v132, v133
	v_pk_add_f16 v117, v127, v117 neg_lo:[0,1] neg_hi:[0,1]
	v_pk_add_f16 v123, v131, v130 neg_lo:[0,1] neg_hi:[0,1]
	;; [unrolled: 1-line block ×4, first 2 shown]
	s_waitcnt lgkmcnt(0)
	v_pk_add_f16 v137, v129, v133
	v_pk_add_f16 v127, v117, v116
	v_pk_mul_f16 v124, v124, s13 op_sel_hi:[1,0]
	v_pk_mul_f16 v123, v123, s14 op_sel_hi:[1,0]
	;; [unrolled: 1-line block ×3, first 2 shown]
	v_pk_add_f16 v131, v132, v131 neg_lo:[0,1] neg_hi:[0,1]
	v_pk_add_f16 v116, v117, v116 neg_lo:[0,1] neg_hi:[0,1]
	;; [unrolled: 1-line block ×3, first 2 shown]
	v_pk_add_f16 v105, v127, v105
	v_pk_fma_f16 v133, v133, s16, v137 op_sel_hi:[1,0,1] neg_lo:[1,0,0] neg_hi:[1,0,0]
	v_pk_add_f16 v134, v124, v123 op_sel:[1,1] op_sel_hi:[0,0] neg_lo:[1,1] neg_hi:[1,1]
	v_pk_fma_f16 v117, v131, s6, v123 op_sel_hi:[1,0,1] neg_lo:[1,0,0] neg_hi:[1,0,0]
	v_pk_fma_f16 v123, v116, s7, v130 op_sel_hi:[1,0,1] neg_lo:[1,0,0] neg_hi:[1,0,0]
	v_pk_add_f16 v117, v117, v133
	v_pk_fma_f16 v123, v105, s5, v123 op_sel_hi:[1,0,1]
	v_pk_mul_f16 v127, v129, s12 op_sel_hi:[1,0]
	v_pk_fma_f16 v129, v129, s12, v130 op_sel_hi:[1,0,1] neg_lo:[1,0,1] neg_hi:[1,0,1]
	v_pk_add_f16 v130, v117, v123 op_sel:[0,1] op_sel_hi:[1,0] neg_lo:[0,1] neg_hi:[0,1]
	v_pk_add_f16 v117, v117, v123 op_sel:[0,1] op_sel_hi:[1,0]
	v_pk_add_f16 v134, v134, v133 op_sel:[0,1] op_sel_hi:[1,0]
	v_pk_fma_f16 v129, v105, s5, v129 op_sel_hi:[1,0,1]
	v_bfi_b32 v176, s4, v130, v117
	v_bfi_b32 v200, s4, v117, v130
	v_pk_fma_f16 v117, v131, s6, v124 op_sel_hi:[1,0,1]
	v_pk_fma_f16 v116, v116, s7, v127 op_sel_hi:[1,0,1]
	v_pk_add_f16 v135, v134, v129
	v_pk_add_f16 v129, v134, v129 neg_lo:[0,1] neg_hi:[0,1]
	v_pk_add_f16 v117, v117, v133
	v_pk_fma_f16 v105, v105, s5, v116 op_sel_hi:[1,0,1]
	v_alignbit_b32 v138, v129, v135, 16
	v_alignbit_b32 v204, v135, v129, 16
	v_pk_add_f16 v127, v117, v105 op_sel:[0,1] op_sel_hi:[1,0]
	v_pk_add_f16 v205, v117, v105 op_sel:[0,1] op_sel_hi:[1,0] neg_lo:[0,1] neg_hi:[0,1]
	ds_read2_b32 v[116:117], v121 offset0:96 offset1:151
	ds_read2_b32 v[123:124], v198 offset0:148 offset1:203
	;; [unrolled: 1-line block ×4, first 2 shown]
	v_bfi_b32 v206, s4, v205, v127
	s_waitcnt lgkmcnt(3)
	v_pk_add_f16 v105, v106, v116
	s_waitcnt lgkmcnt(2)
	v_pk_add_f16 v133, v123, v125
	s_waitcnt lgkmcnt(1)
	v_pk_add_f16 v134, v118, v129
	v_pk_add_f16 v135, v133, v105
	v_pk_add_f16 v106, v106, v116 neg_lo:[0,1] neg_hi:[0,1]
	v_pk_add_f16 v116, v123, v125 neg_lo:[0,1] neg_hi:[0,1]
	v_pk_add_f16 v135, v134, v135
	v_pk_add_f16 v118, v129, v118 neg_lo:[0,1] neg_hi:[0,1]
	v_pk_add_f16 v123, v133, v105 neg_lo:[0,1] neg_hi:[0,1]
	;; [unrolled: 1-line block ×4, first 2 shown]
	s_waitcnt lgkmcnt(0)
	v_pk_add_f16 v131, v131, v135
	v_pk_add_f16 v125, v118, v116
	v_pk_mul_f16 v105, v105, s13 op_sel_hi:[1,0]
	v_pk_mul_f16 v123, v123, s14 op_sel_hi:[1,0]
	;; [unrolled: 1-line block ×3, first 2 shown]
	v_pk_add_f16 v133, v134, v133 neg_lo:[0,1] neg_hi:[0,1]
	v_pk_add_f16 v116, v118, v116 neg_lo:[0,1] neg_hi:[0,1]
	;; [unrolled: 1-line block ×3, first 2 shown]
	v_pk_add_f16 v106, v125, v106
	v_pk_fma_f16 v135, v135, s16, v131 op_sel_hi:[1,0,1] neg_lo:[1,0,0] neg_hi:[1,0,0]
	v_pk_add_f16 v207, v105, v123 op_sel:[1,1] op_sel_hi:[0,0] neg_lo:[1,1] neg_hi:[1,1]
	v_pk_fma_f16 v118, v133, s6, v123 op_sel_hi:[1,0,1] neg_lo:[1,0,0] neg_hi:[1,0,0]
	v_pk_fma_f16 v123, v116, s7, v136 op_sel_hi:[1,0,1] neg_lo:[1,0,0] neg_hi:[1,0,0]
	v_pk_mul_f16 v125, v129, s12 op_sel_hi:[1,0]
	v_pk_add_f16 v118, v118, v135
	v_pk_fma_f16 v123, v106, s5, v123 op_sel_hi:[1,0,1]
	v_pk_fma_f16 v129, v129, s12, v136 op_sel_hi:[1,0,1] neg_lo:[1,0,1] neg_hi:[1,0,1]
	v_pk_add_f16 v134, v118, v123 op_sel:[0,1] op_sel_hi:[1,0] neg_lo:[0,1] neg_hi:[0,1]
	v_pk_add_f16 v118, v118, v123 op_sel:[0,1] op_sel_hi:[1,0]
	v_pk_fma_f16 v105, v133, s6, v105 op_sel_hi:[1,0,1]
	v_pk_fma_f16 v116, v116, s7, v125 op_sel_hi:[1,0,1]
	v_pk_add_f16 v207, v207, v135 op_sel:[0,1] op_sel_hi:[1,0]
	v_pk_fma_f16 v129, v106, s5, v129 op_sel_hi:[1,0,1]
	v_bfi_b32 v209, s4, v134, v118
	v_bfi_b32 v118, s4, v118, v134
	v_pk_add_f16 v123, v105, v135
	v_pk_fma_f16 v116, v106, s5, v116 op_sel_hi:[1,0,1]
	ds_read2_b32 v[105:106], v113 offset0:184 offset1:239
	ds_read2_b32 v[133:134], v197 offset0:4 offset1:59
	;; [unrolled: 1-line block ×3, first 2 shown]
	v_pk_add_f16 v208, v207, v129
	v_pk_add_f16 v129, v207, v129 neg_lo:[0,1] neg_hi:[0,1]
	v_pk_add_f16 v125, v123, v116 op_sel:[0,1] op_sel_hi:[1,0]
	v_pk_add_f16 v114, v123, v116 op_sel:[0,1] op_sel_hi:[1,0] neg_lo:[0,1] neg_hi:[0,1]
	s_waitcnt lgkmcnt(2)
	v_pk_add_f16 v116, v105, v117
	s_waitcnt lgkmcnt(1)
	v_pk_add_f16 v123, v124, v133
	v_alignbit_b32 v207, v129, v208, 16
	v_alignbit_b32 v208, v208, v129, 16
	s_waitcnt lgkmcnt(0)
	v_pk_add_f16 v129, v135, v130
	v_pk_add_f16 v211, v123, v116
	v_pk_add_f16 v105, v105, v117 neg_lo:[0,1] neg_hi:[0,1]
	v_pk_add_f16 v117, v124, v133 neg_lo:[0,1] neg_hi:[0,1]
	v_pk_add_f16 v211, v129, v211
	v_pk_add_f16 v124, v130, v135 neg_lo:[0,1] neg_hi:[0,1]
	v_pk_add_f16 v130, v123, v116 neg_lo:[0,1] neg_hi:[0,1]
	;; [unrolled: 1-line block ×3, first 2 shown]
	v_pk_add_f16 v132, v132, v211
	v_pk_add_f16 v116, v116, v129 neg_lo:[0,1] neg_hi:[0,1]
	v_pk_add_f16 v133, v124, v117
	v_pk_add_f16 v135, v105, v124 neg_lo:[0,1] neg_hi:[0,1]
	v_pk_mul_f16 v130, v130, s14 op_sel_hi:[1,0]
	v_pk_mul_f16 v212, v212, s15 op_sel_hi:[1,0]
	v_pk_add_f16 v123, v129, v123 neg_lo:[0,1] neg_hi:[0,1]
	v_pk_add_f16 v117, v124, v117 neg_lo:[0,1] neg_hi:[0,1]
	v_pk_add_f16 v105, v133, v105
	v_pk_mul_f16 v116, v116, s13 op_sel_hi:[1,0]
	v_pk_mul_f16 v133, v135, s12 op_sel_hi:[1,0]
	v_pk_fma_f16 v211, v211, s16, v132 op_sel_hi:[1,0,1] neg_lo:[1,0,0] neg_hi:[1,0,0]
	v_pk_fma_f16 v124, v123, s6, v130 op_sel_hi:[1,0,1] neg_lo:[1,0,0] neg_hi:[1,0,0]
	;; [unrolled: 1-line block ×3, first 2 shown]
	v_pk_add_f16 v213, v116, v130 op_sel:[1,1] op_sel_hi:[0,0] neg_lo:[1,1] neg_hi:[1,1]
	v_pk_fma_f16 v135, v135, s12, v212 op_sel_hi:[1,0,1] neg_lo:[1,0,1] neg_hi:[1,0,1]
	v_pk_add_f16 v124, v124, v211
	v_pk_fma_f16 v129, v105, s5, v129 op_sel_hi:[1,0,1]
	v_pk_fma_f16 v116, v123, s6, v116 op_sel_hi:[1,0,1]
	;; [unrolled: 1-line block ×4, first 2 shown]
	v_pk_add_f16 v130, v124, v129 op_sel:[0,1] op_sel_hi:[1,0] neg_lo:[0,1] neg_hi:[0,1]
	v_pk_add_f16 v124, v124, v129 op_sel:[0,1] op_sel_hi:[1,0]
	v_pk_add_f16 v116, v116, v211
	v_pk_fma_f16 v105, v105, s5, v117 op_sel_hi:[1,0,1]
	v_pk_add_f16 v213, v213, v211 op_sel:[0,1] op_sel_hi:[1,0]
	v_bfi_b32 v212, s4, v130, v124
	v_bfi_b32 v215, s4, v124, v130
	v_pk_add_f16 v133, v116, v105 op_sel:[0,1] op_sel_hi:[1,0]
	v_pk_add_f16 v105, v116, v105 op_sel:[0,1] op_sel_hi:[1,0] neg_lo:[0,1] neg_hi:[0,1]
	ds_read_b32 v211, v139 offset:7480
	ds_read2_b32 v[116:117], v119 offset0:2 offset1:57
	ds_read2_b32 v[123:124], v120 offset0:40 offset1:95
	;; [unrolled: 1-line block ×3, first 2 shown]
	s_waitcnt lgkmcnt(0)
	; wave barrier
	s_waitcnt lgkmcnt(0)
	v_pk_add_f16 v222, v117, v126
	v_pk_add_f16 v221, v115, v124
	;; [unrolled: 1-line block ×4, first 2 shown]
	v_pk_add_f16 v122, v130, v122 neg_lo:[0,1] neg_hi:[0,1]
	v_pk_add_f16 v115, v115, v124 neg_lo:[0,1] neg_hi:[0,1]
	v_pk_add_f16 v223, v222, v223
	v_pk_add_f16 v117, v126, v117 neg_lo:[0,1] neg_hi:[0,1]
	v_pk_add_f16 v124, v221, v220 neg_lo:[0,1] neg_hi:[0,1]
	v_pk_add_f16 v126, v220, v222 neg_lo:[0,1] neg_hi:[0,1]
	v_pk_add_f16 v224, v115, v122 neg_lo:[0,1] neg_hi:[0,1]
	v_pk_add_f16 v128, v128, v223
	v_pk_add_f16 v130, v117, v115
	v_pk_add_f16 v220, v122, v117 neg_lo:[0,1] neg_hi:[0,1]
	v_pk_mul_f16 v126, v126, s13 op_sel_hi:[1,0]
	v_pk_mul_f16 v124, v124, s14 op_sel_hi:[1,0]
	;; [unrolled: 1-line block ×3, first 2 shown]
	v_pk_add_f16 v221, v222, v221 neg_lo:[0,1] neg_hi:[0,1]
	v_pk_add_f16 v115, v117, v115 neg_lo:[0,1] neg_hi:[0,1]
	v_pk_add_f16 v122, v130, v122
	v_pk_mul_f16 v130, v220, s12 op_sel_hi:[1,0]
	v_pk_fma_f16 v223, v223, s16, v128 op_sel_hi:[1,0,1] neg_lo:[1,0,0] neg_hi:[1,0,0]
	v_pk_add_f16 v225, v126, v124 op_sel:[1,1] op_sel_hi:[0,0] neg_lo:[1,1] neg_hi:[1,1]
	v_pk_fma_f16 v220, v220, s12, v224 op_sel_hi:[1,0,1] neg_lo:[1,0,1] neg_hi:[1,0,1]
	v_pk_fma_f16 v117, v221, s6, v124 op_sel_hi:[1,0,1] neg_lo:[1,0,0] neg_hi:[1,0,0]
	;; [unrolled: 1-line block ×3, first 2 shown]
	v_pk_add_f16 v225, v225, v223 op_sel:[0,1] op_sel_hi:[1,0]
	v_pk_fma_f16 v220, v122, s5, v220 op_sel_hi:[1,0,1]
	v_pk_add_f16 v117, v117, v223
	v_pk_fma_f16 v124, v122, s5, v124 op_sel_hi:[1,0,1]
	v_pk_add_f16 v226, v225, v220
	v_pk_add_f16 v220, v225, v220 neg_lo:[0,1] neg_hi:[0,1]
	v_pk_add_f16 v222, v117, v124 op_sel:[0,1] op_sel_hi:[1,0] neg_lo:[0,1] neg_hi:[0,1]
	v_pk_add_f16 v117, v117, v124 op_sel:[0,1] op_sel_hi:[1,0]
	v_alignbit_b32 v225, v220, v226, 16
	v_bfi_b32 v124, s4, v222, v117
	ds_write2_b32 v107, v225, v124 offset0:2 offset1:3
	v_bfi_b32 v117, s4, v117, v222
	v_alignbit_b32 v124, v226, v220, 16
	ds_write2_b32 v107, v117, v124 offset0:4 offset1:5
	v_pk_fma_f16 v117, v221, s6, v126 op_sel_hi:[1,0,1]
	v_pk_fma_f16 v115, v115, s7, v130 op_sel_hi:[1,0,1]
	v_pk_add_f16 v117, v117, v223
	v_pk_fma_f16 v115, v122, s5, v115 op_sel_hi:[1,0,1]
	v_pk_add_f16 v122, v117, v115 op_sel:[0,1] op_sel_hi:[1,0]
	v_pk_add_f16 v115, v117, v115 op_sel:[0,1] op_sel_hi:[1,0] neg_lo:[0,1] neg_hi:[0,1]
	v_bfi_b32 v117, s4, v115, v122
	v_bfi_b32 v115, s4, v122, v115
	v_pk_add_f16 v214, v213, v135
	v_pk_add_f16 v135, v213, v135 neg_lo:[0,1] neg_hi:[0,1]
	ds_write2_b32 v107, v128, v115 offset1:1
	ds_write_b32 v107, v117 offset:24
	ds_write2_b32 v108, v138, v176 offset0:2 offset1:3
	ds_write2_b32 v108, v200, v204 offset0:4 offset1:5
	v_bfi_b32 v107, s4, v127, v205
	v_alignbit_b32 v213, v135, v214, 16
	v_alignbit_b32 v135, v214, v135, 16
	v_bfi_b32 v214, s4, v105, v133
	v_pk_add_f16 v216, v106, v211
	v_pk_add_f16 v217, v116, v134
	ds_write2_b32 v108, v137, v107 offset1:1
	ds_write_b32 v108, v206 offset:24
	ds_write2_b32 v109, v207, v209 offset0:2 offset1:3
	ds_write2_b32 v109, v118, v208 offset0:4 offset1:5
	v_bfi_b32 v107, s4, v125, v114
	v_bfi_b32 v105, s4, v133, v105
	;; [unrolled: 1-line block ×3, first 2 shown]
	v_pk_add_f16 v218, v136, v123
	v_pk_add_f16 v219, v217, v216
	ds_write2_b32 v109, v131, v107 offset1:1
	ds_write_b32 v109, v210 offset:24
	ds_write2_b32 v110, v213, v212 offset0:2 offset1:3
	ds_write2_b32 v110, v215, v135 offset0:4 offset1:5
	ds_write2_b32 v110, v132, v105 offset1:1
	ds_write_b32 v110, v214 offset:24
	v_pk_add_f16 v105, v106, v211 neg_lo:[0,1] neg_hi:[0,1]
	v_pk_add_f16 v106, v116, v134 neg_lo:[0,1] neg_hi:[0,1]
	v_pk_add_f16 v219, v218, v219
	v_pk_add_f16 v107, v123, v136 neg_lo:[0,1] neg_hi:[0,1]
	v_pk_add_f16 v108, v217, v216 neg_lo:[0,1] neg_hi:[0,1]
	;; [unrolled: 1-line block ×4, first 2 shown]
	v_pk_add_f16 v129, v129, v219
	v_pk_add_f16 v110, v107, v106
	v_pk_add_f16 v114, v105, v107 neg_lo:[0,1] neg_hi:[0,1]
	v_pk_mul_f16 v109, v109, s13 op_sel_hi:[1,0]
	v_pk_mul_f16 v108, v108, s14 op_sel_hi:[1,0]
	;; [unrolled: 1-line block ×3, first 2 shown]
	v_pk_add_f16 v105, v110, v105
	v_pk_mul_f16 v110, v114, s12 op_sel_hi:[1,0]
	v_pk_fma_f16 v116, v219, s16, v129 op_sel_hi:[1,0,1] neg_lo:[1,0,0] neg_hi:[1,0,0]
	v_pk_add_f16 v117, v109, v108 op_sel:[1,1] op_sel_hi:[0,0] neg_lo:[1,1] neg_hi:[1,1]
	v_pk_fma_f16 v114, v114, s12, v115 op_sel_hi:[1,0,1] neg_lo:[1,0,1] neg_hi:[1,0,1]
	v_pk_add_f16 v117, v117, v116 op_sel:[0,1] op_sel_hi:[1,0]
	v_pk_fma_f16 v114, v105, s5, v114 op_sel_hi:[1,0,1]
	v_pk_add_f16 v200, v117, v114
	v_pk_add_f16 v176, v117, v114 neg_lo:[0,1] neg_hi:[0,1]
	v_pk_add_f16 v117, v218, v217 neg_lo:[0,1] neg_hi:[0,1]
	;; [unrolled: 1-line block ×3, first 2 shown]
	v_pk_fma_f16 v107, v117, s6, v108 op_sel_hi:[1,0,1] neg_lo:[1,0,0] neg_hi:[1,0,0]
	v_pk_fma_f16 v108, v106, s7, v115 op_sel_hi:[1,0,1] neg_lo:[1,0,0] neg_hi:[1,0,0]
	v_pk_add_f16 v107, v107, v116
	v_pk_fma_f16 v108, v105, s5, v108 op_sel_hi:[1,0,1]
	v_pk_add_f16 v115, v107, v108 op_sel:[0,1] op_sel_hi:[1,0] neg_lo:[0,1] neg_hi:[0,1]
	v_pk_add_f16 v107, v107, v108 op_sel:[0,1] op_sel_hi:[1,0]
	v_alignbit_b32 v114, v176, v200, 16
	v_bfi_b32 v108, s4, v115, v107
	ds_write2_b32 v111, v114, v108 offset0:2 offset1:3
	v_bfi_b32 v107, s4, v107, v115
	v_alignbit_b32 v108, v200, v176, 16
	ds_write2_b32 v111, v107, v108 offset0:4 offset1:5
	v_pk_fma_f16 v107, v117, s6, v109 op_sel_hi:[1,0,1]
	v_pk_fma_f16 v106, v106, s7, v110 op_sel_hi:[1,0,1]
	v_pk_add_f16 v107, v107, v116
	v_pk_fma_f16 v105, v105, s5, v106 op_sel_hi:[1,0,1]
	v_pk_add_f16 v204, v107, v105 op_sel:[0,1] op_sel_hi:[1,0]
	v_pk_add_f16 v106, v107, v105 op_sel:[0,1] op_sel_hi:[1,0] neg_lo:[0,1] neg_hi:[0,1]
	v_bfi_b32 v107, s4, v204, v106
	v_bfi_b32 v105, s4, v106, v204
	ds_write2_b32 v111, v129, v107 offset1:1
	ds_write_b32 v111, v105 offset:24
	s_waitcnt lgkmcnt(0)
	; wave barrier
	s_waitcnt lgkmcnt(0)
	ds_read2_b32 v[109:110], v139 offset1:55
	ds_read2_b32 v[107:108], v139 offset0:110 offset1:175
	ds_read2_b32 v[137:138], v113 offset0:94 offset1:149
	;; [unrolled: 1-line block ×13, first 2 shown]
	ds_read2_b32 v[121:122], v120 offset1:55
	ds_read2_b32 v[119:120], v197 offset0:94 offset1:149
	ds_read_b32 v203, v139 offset:7440
	v_lshrrev_b32_e32 v105, 16, v176
	v_lshrrev_b32_e32 v201, 16, v204
	s_and_saveexec_b64 s[4:5], s[0:1]
	s_cbranch_execz .LBB0_7
; %bb.6:
	v_add_u32_e32 v99, 0xd00, v139
	ds_read2_b32 v[105:106], v199 offset0:37 offset1:212
	ds_read2_b32 v[97:98], v198 offset0:3 offset1:178
	;; [unrolled: 1-line block ×5, first 2 shown]
	ds_read_b32 v180, v139 offset:7660
	s_waitcnt lgkmcnt(5)
	v_lshrrev_b32_e32 v200, 16, v105
	v_lshrrev_b32_e32 v201, 16, v106
	s_waitcnt lgkmcnt(4)
	v_lshrrev_b32_e32 v178, 16, v97
	v_lshrrev_b32_e32 v179, 16, v98
	;; [unrolled: 3-line block ×5, first 2 shown]
	s_waitcnt lgkmcnt(0)
	v_lshrrev_b32_e32 v181, 16, v180
.LBB0_7:
	s_or_b64 exec, exec, s[4:5]
	s_waitcnt lgkmcnt(14)
	v_lshrrev_b32_e32 v176, 16, v108
	v_mul_f16_sdwa v229, v8, v176 dst_sel:DWORD dst_unused:UNUSED_PAD src0_sel:WORD_1 src1_sel:DWORD
	v_lshrrev_b32_e32 v197, 16, v137
	v_fma_f16 v229, v8, v108, v229
	v_mul_f16_sdwa v108, v8, v108 dst_sel:DWORD dst_unused:UNUSED_PAD src0_sel:WORD_1 src1_sel:DWORD
	v_fma_f16 v108, v8, v176, -v108
	v_mul_f16_sdwa v8, v9, v197 dst_sel:DWORD dst_unused:UNUSED_PAD src0_sel:WORD_1 src1_sel:DWORD
	s_waitcnt lgkmcnt(13)
	v_lshrrev_b32_e32 v198, 16, v118
	v_fma_f16 v176, v9, v137, v8
	v_mul_f16_sdwa v8, v9, v137 dst_sel:DWORD dst_unused:UNUSED_PAD src0_sel:WORD_1 src1_sel:DWORD
	v_fma_f16 v137, v9, v197, -v8
	v_mul_f16_sdwa v8, v10, v198 dst_sel:DWORD dst_unused:UNUSED_PAD src0_sel:WORD_1 src1_sel:DWORD
	s_waitcnt lgkmcnt(12)
	;; [unrolled: 6-line block ×9, first 2 shown]
	v_lshrrev_b32_e32 v209, 16, v127
	v_fma_f16 v207, v92, v129, v8
	v_mul_f16_sdwa v8, v92, v129 dst_sel:DWORD dst_unused:UNUSED_PAD src0_sel:WORD_1 src1_sel:DWORD
	v_fma_f16 v208, v92, v208, -v8
	v_mul_f16_sdwa v8, v16, v209 dst_sel:DWORD dst_unused:UNUSED_PAD src0_sel:WORD_1 src1_sel:DWORD
	v_lshrrev_b32_e32 v210, 16, v138
	v_fma_f16 v234, v16, v127, v8
	v_mul_f16_sdwa v8, v16, v127 dst_sel:DWORD dst_unused:UNUSED_PAD src0_sel:WORD_1 src1_sel:DWORD
	v_fma_f16 v209, v16, v209, -v8
	v_mul_f16_sdwa v8, v17, v210 dst_sel:DWORD dst_unused:UNUSED_PAD src0_sel:WORD_1 src1_sel:DWORD
	s_waitcnt lgkmcnt(4)
	v_lshrrev_b32_e32 v211, 16, v125
	v_fma_f16 v235, v17, v138, v8
	v_mul_f16_sdwa v8, v17, v138 dst_sel:DWORD dst_unused:UNUSED_PAD src0_sel:WORD_1 src1_sel:DWORD
	v_fma_f16 v138, v17, v210, -v8
	v_mul_f16_sdwa v8, v18, v211 dst_sel:DWORD dst_unused:UNUSED_PAD src0_sel:WORD_1 src1_sel:DWORD
	v_lshrrev_b32_e32 v212, 16, v136
	v_fma_f16 v210, v18, v125, v8
	v_mul_f16_sdwa v8, v18, v125 dst_sel:DWORD dst_unused:UNUSED_PAD src0_sel:WORD_1 src1_sel:DWORD
	v_fma_f16 v211, v18, v211, -v8
	v_mul_f16_sdwa v8, v19, v212 dst_sel:DWORD dst_unused:UNUSED_PAD src0_sel:WORD_1 src1_sel:DWORD
	s_waitcnt lgkmcnt(3)
	;; [unrolled: 11-line block ×4, first 2 shown]
	v_lshrrev_b32_e32 v217, 16, v119
	v_fma_f16 v134, v23, v132, v8
	v_mul_f16_sdwa v8, v23, v132 dst_sel:DWORD dst_unused:UNUSED_PAD src0_sel:WORD_1 src1_sel:DWORD
	v_fma_f16 v132, v23, v216, -v8
	v_mul_f16_sdwa v8, v93, v217 dst_sel:DWORD dst_unused:UNUSED_PAD src0_sel:WORD_1 src1_sel:DWORD
	v_lshrrev_b32_e32 v218, 16, v130
	v_fma_f16 v136, v93, v119, v8
	v_mul_f16_sdwa v8, v93, v119 dst_sel:DWORD dst_unused:UNUSED_PAD src0_sel:WORD_1 src1_sel:DWORD
	v_fma_f16 v212, v93, v217, -v8
	v_mul_f16_sdwa v8, v94, v218 dst_sel:DWORD dst_unused:UNUSED_PAD src0_sel:WORD_1 src1_sel:DWORD
	;; [unrolled: 5-line block ×11, first 2 shown]
	s_waitcnt lgkmcnt(0)
	v_lshrrev_b32_e32 v228, 16, v203
	v_fma_f16 v24, v95, v120, v8
	v_mul_f16_sdwa v8, v95, v120 dst_sel:DWORD dst_unused:UNUSED_PAD src0_sel:WORD_1 src1_sel:DWORD
	v_fma_f16 v25, v95, v227, -v8
	v_mul_f16_sdwa v8, v96, v228 dst_sel:DWORD dst_unused:UNUSED_PAD src0_sel:WORD_1 src1_sel:DWORD
	v_fma_f16 v95, v96, v203, v8
	v_mul_f16_sdwa v8, v96, v203 dst_sel:DWORD dst_unused:UNUSED_PAD src0_sel:WORD_1 src1_sel:DWORD
	v_fma_f16 v96, v96, v228, -v8
	v_add_f16_e32 v8, v109, v229
	v_add_f16_sdwa v9, v109, v108 dst_sel:DWORD dst_unused:UNUSED_PAD src0_sel:WORD_1 src1_sel:DWORD
	v_add_f16_e32 v8, v8, v176
	v_add_f16_e32 v9, v9, v137
	;; [unrolled: 1-line block ×12, first 2 shown]
	v_sub_f16_e32 v29, v108, v208
	v_add_f16_e32 v8, v8, v232
	v_add_f16_e32 v9, v9, v206
	;; [unrolled: 1-line block ×4, first 2 shown]
	v_mul_f16_e32 v30, 0xb853, v29
	s_movk_i32 s6, 0x3abb
	v_mul_f16_e32 v108, 0xbb47, v29
	s_movk_i32 s12, 0x36a6
	v_mul_f16_e32 v117, 0xbbeb, v29
	s_mov_b32 s14, 0xb08e
	v_mul_f16_e32 v122, 0xba0c, v29
	s_mov_b32 s17, 0xb93d
	;; [unrolled: 2-line block ×3, first 2 shown]
	v_add_f16_e32 v8, v8, v233
	v_add_f16_e32 v9, v9, v112
	v_sub_f16_e32 v28, v229, v207
	s_mov_b32 s7, 0xb853
	v_fma_f16 v31, v26, s6, v30
	v_mul_f16_e32 v93, 0x3abb, v27
	s_movk_i32 s15, 0x3853
	v_fma_f16 v30, v26, s6, -v30
	s_mov_b32 s13, 0xbb47
	v_fma_f16 v111, v26, s12, v108
	v_mul_f16_e32 v113, 0x36a6, v27
	s_movk_i32 s22, 0x3b47
	v_fma_f16 v108, v26, s12, -v108
	;; [unrolled: 5-line block ×5, first 2 shown]
	v_add_f16_e32 v29, v137, v112
	v_sub_f16_e32 v112, v137, v112
	v_add_f16_e32 v8, v8, v207
	v_fma_f16 v94, v28, s15, v93
	v_fma_f16 v93, v28, s7, v93
	;; [unrolled: 1-line block ×10, first 2 shown]
	v_add_f16_e32 v28, v176, v233
	v_mul_f16_e32 v137, 0xbb47, v112
	v_add_f16_e32 v31, v109, v31
	v_add_f16_sdwa v94, v109, v94 dst_sel:DWORD dst_unused:UNUSED_PAD src0_sel:WORD_1 src1_sel:DWORD
	v_add_f16_e32 v30, v109, v30
	v_add_f16_sdwa v93, v109, v93 dst_sel:DWORD dst_unused:UNUSED_PAD src0_sel:WORD_1 src1_sel:DWORD
	;; [unrolled: 2-line block ×10, first 2 shown]
	v_sub_f16_e32 v109, v176, v233
	v_fma_f16 v176, v28, s12, v137
	v_add_f16_e32 v31, v176, v31
	v_mul_f16_e32 v176, 0x36a6, v29
	v_fma_f16 v137, v28, s12, -v137
	v_add_f16_e32 v30, v137, v30
	v_fma_f16 v137, v109, s13, v176
	v_add_f16_e32 v93, v137, v93
	v_mul_f16_e32 v137, 0xba0c, v112
	v_add_f16_e32 v9, v9, v208
	v_fma_f16 v208, v109, s22, v176
	v_fma_f16 v176, v28, s17, v137
	v_add_f16_e32 v111, v176, v111
	v_mul_f16_e32 v176, 0xb93d, v29
	v_fma_f16 v137, v28, s17, -v137
	v_add_f16_e32 v108, v137, v108
	v_fma_f16 v137, v109, s18, v176
	v_add_f16_e32 v113, v137, v113
	v_mul_f16_e32 v137, 0x3482, v112
	v_add_f16_e32 v94, v208, v94
	v_fma_f16 v208, v109, s24, v176
	;; [unrolled: 10-line block ×3, first 2 shown]
	v_fma_f16 v176, v28, s14, v137
	v_add_f16_e32 v124, v176, v124
	v_mul_f16_e32 v176, 0xb08e, v29
	v_fma_f16 v137, v28, s14, -v137
	v_add_f16_e32 v122, v137, v122
	v_fma_f16 v137, v109, s21, v176
	v_mul_f16_e32 v112, 0x3853, v112
	v_add_f16_e32 v126, v137, v126
	v_fma_f16 v137, v28, s6, v112
	v_mul_f16_e32 v29, 0x3abb, v29
	v_fma_f16 v28, v28, s6, -v112
	v_add_f16_e32 v26, v28, v26
	v_fma_f16 v28, v109, s15, v29
	v_sub_f16_e32 v112, v118, v206
	v_add_f16_e32 v121, v208, v121
	v_fma_f16 v208, v109, s16, v176
	v_fma_f16 v176, v109, s7, v29
	v_add_f16_e32 v27, v28, v27
	v_add_f16_e32 v28, v197, v232
	v_add_f16_e32 v29, v118, v206
	v_mul_f16_e32 v118, 0xbbeb, v112
	v_sub_f16_e32 v109, v197, v232
	v_fma_f16 v197, v28, s14, v118
	v_add_f16_e32 v31, v197, v31
	v_mul_f16_e32 v197, 0xb08e, v29
	v_fma_f16 v118, v28, s14, -v118
	v_add_f16_e32 v30, v118, v30
	v_fma_f16 v118, v109, s16, v197
	v_add_f16_e32 v93, v118, v93
	v_mul_f16_e32 v118, 0x3482, v112
	v_add_f16_e32 v137, v137, v203
	v_fma_f16 v203, v109, s21, v197
	v_fma_f16 v197, v28, s19, v118
	v_add_f16_e32 v111, v197, v111
	v_mul_f16_e32 v197, 0xbbad, v29
	v_fma_f16 v118, v28, s19, -v118
	v_add_f16_e32 v108, v118, v108
	v_fma_f16 v118, v109, s23, v197
	v_add_f16_e32 v113, v118, v113
	v_mul_f16_e32 v118, 0x3b47, v112
	v_add_f16_e32 v94, v203, v94
	v_fma_f16 v203, v109, s20, v197
	;; [unrolled: 10-line block ×3, first 2 shown]
	v_fma_f16 v197, v28, s6, v120
	v_add_f16_e32 v124, v197, v124
	v_mul_f16_e32 v197, 0x3abb, v29
	v_fma_f16 v120, v28, s6, -v120
	v_add_f16_e32 v120, v120, v122
	v_fma_f16 v122, v109, s7, v197
	v_mul_f16_e32 v112, 0xba0c, v112
	v_add_f16_e32 v122, v122, v126
	v_fma_f16 v126, v28, s17, v112
	v_mul_f16_e32 v29, 0xb93d, v29
	v_fma_f16 v28, v28, s17, -v112
	v_add_f16_e32 v26, v28, v26
	v_fma_f16 v28, v109, s18, v29
	v_sub_f16_e32 v112, v135, v205
	v_add_f16_e32 v176, v176, v207
	v_add_f16_e32 v126, v126, v137
	v_fma_f16 v137, v109, s24, v29
	v_add_f16_e32 v27, v28, v27
	v_add_f16_e32 v28, v198, v231
	;; [unrolled: 1-line block ×3, first 2 shown]
	v_mul_f16_e32 v135, 0xba0c, v112
	v_add_f16_e32 v137, v137, v176
	v_fma_f16 v176, v28, s17, v135
	v_add_f16_e32 v121, v203, v121
	v_fma_f16 v203, v109, s15, v197
	v_sub_f16_e32 v109, v198, v231
	v_add_f16_e32 v31, v176, v31
	v_mul_f16_e32 v176, 0xb93d, v29
	v_fma_f16 v135, v28, s17, -v135
	v_add_f16_e32 v30, v135, v30
	v_fma_f16 v135, v109, s18, v176
	v_add_f16_e32 v93, v135, v93
	v_mul_f16_e32 v135, 0x3beb, v112
	v_fma_f16 v197, v109, s24, v176
	v_fma_f16 v176, v28, s14, v135
	v_add_f16_e32 v111, v176, v111
	v_mul_f16_e32 v176, 0xb08e, v29
	v_fma_f16 v135, v28, s14, -v135
	v_add_f16_e32 v108, v135, v108
	v_fma_f16 v135, v109, s21, v176
	v_add_f16_e32 v113, v135, v113
	v_mul_f16_e32 v135, 0xb853, v112
	v_add_f16_e32 v94, v197, v94
	v_fma_f16 v197, v109, s16, v176
	v_fma_f16 v176, v28, s6, v135
	v_add_f16_e32 v119, v176, v119
	v_mul_f16_e32 v176, 0x3abb, v29
	v_fma_f16 v135, v28, s6, -v135
	v_add_f16_e32 v117, v135, v117
	v_fma_f16 v135, v109, s7, v176
	v_add_f16_e32 v118, v135, v118
	v_mul_f16_e32 v135, 0xb482, v112
	v_add_f16_e32 v115, v197, v115
	v_fma_f16 v197, v109, s15, v176
	v_fma_f16 v176, v28, s19, v135
	v_add_f16_e32 v124, v176, v124
	v_mul_f16_e32 v176, 0xbbad, v29
	v_fma_f16 v135, v28, s19, -v135
	v_add_f16_e32 v120, v135, v120
	v_fma_f16 v135, v109, s20, v176
	v_mul_f16_e32 v112, 0x3b47, v112
	v_add_f16_e32 v122, v135, v122
	v_fma_f16 v135, v28, s12, v112
	v_mul_f16_e32 v29, 0x36a6, v29
	v_add_f16_e32 v128, v208, v128
	v_add_f16_e32 v126, v135, v126
	v_fma_f16 v135, v109, s13, v29
	v_fma_f16 v28, v28, s12, -v112
	v_add_f16_e32 v128, v203, v128
	v_add_f16_e32 v121, v197, v121
	v_fma_f16 v197, v109, s23, v176
	v_add_f16_e32 v135, v135, v137
	v_add_f16_e32 v137, v28, v26
	v_fma_f16 v26, v109, s22, v29
	v_add_f16_e32 v198, v202, v204
	v_sub_f16_e32 v202, v202, v204
	v_add_f16_e32 v128, v197, v128
	v_add_f16_e32 v176, v26, v27
	v_add_f16_e32 v197, v199, v230
	v_mul_f16_e32 v26, 0xb482, v202
	v_fma_f16 v27, v197, s19, v26
	v_fma_f16 v26, v197, s19, -v26
	v_add_f16_e32 v26, v26, v30
	v_mul_f16_e32 v30, 0x3853, v202
	v_add_f16_e32 v28, v27, v31
	v_fma_f16 v31, v197, s6, v30
	v_fma_f16 v30, v197, s6, -v30
	v_sub_f16_e32 v199, v199, v230
	v_mul_f16_e32 v27, 0xbbad, v198
	v_add_f16_e32 v30, v30, v108
	v_mul_f16_e32 v108, 0xba0c, v202
	v_fma_f16 v29, v199, s23, v27
	v_fma_f16 v27, v199, s20, v27
	;; [unrolled: 1-line block ×3, first 2 shown]
	v_add_f16_e32 v27, v27, v93
	v_add_f16_e32 v93, v31, v111
	;; [unrolled: 1-line block ×3, first 2 shown]
	v_mul_f16_e32 v109, 0xb93d, v198
	v_mul_f16_e32 v31, 0x3abb, v198
	v_fma_f16 v112, v199, s24, v109
	v_add_f16_e32 v29, v29, v94
	v_fma_f16 v94, v199, s7, v31
	v_add_f16_e32 v112, v112, v121
	v_mul_f16_e32 v121, 0xbbeb, v202
	v_add_f16_e32 v94, v94, v115
	v_fma_f16 v31, v199, s15, v31
	v_mul_f16_e32 v115, 0x3b47, v202
	v_fma_f16 v119, v197, s14, v121
	v_add_f16_e32 v31, v31, v113
	v_fma_f16 v113, v197, s12, v115
	v_add_f16_e32 v119, v119, v126
	v_add_f16_sdwa v126, v110, v209 dst_sel:DWORD dst_unused:UNUSED_PAD src0_sel:WORD_1 src1_sel:DWORD
	v_add_f16_e32 v113, v113, v124
	v_add_f16_e32 v124, v110, v234
	;; [unrolled: 1-line block ×7, first 2 shown]
	v_fma_f16 v109, v199, s18, v109
	v_add_f16_e32 v124, v124, v127
	v_add_f16_e32 v126, v126, v116
	v_fma_f16 v108, v197, s17, -v108
	v_add_f16_e32 v109, v109, v118
	v_mul_f16_e32 v118, 0x36a6, v198
	v_add_f16_e32 v124, v124, v114
	v_add_f16_e32 v126, v126, v125
	;; [unrolled: 1-line block ×3, first 2 shown]
	v_fma_f16 v117, v199, s13, v118
	v_fma_f16 v118, v199, s22, v118
	v_add_f16_e32 v124, v124, v123
	v_add_f16_e32 v126, v126, v133
	v_fma_f16 v115, v197, s12, -v115
	v_add_f16_e32 v118, v118, v122
	v_mul_f16_e32 v122, 0xb08e, v198
	v_add_f16_e32 v124, v124, v131
	v_add_f16_e32 v126, v126, v132
	;; [unrolled: 1-line block ×3, first 2 shown]
	v_fma_f16 v120, v199, s21, v122
	v_add_f16_e32 v124, v124, v134
	v_add_f16_e32 v126, v126, v212
	;; [unrolled: 1-line block ×3, first 2 shown]
	v_fma_f16 v121, v197, s14, -v121
	v_fma_f16 v122, v199, s16, v122
	v_add_f16_e32 v124, v124, v136
	v_add_f16_e32 v126, v126, v130
	;; [unrolled: 1-line block ×3, first 2 shown]
	v_sub_f16_e32 v130, v209, v130
	v_add_f16_e32 v117, v117, v128
	v_add_f16_e32 v121, v121, v137
	;; [unrolled: 1-line block ×5, first 2 shown]
	v_sub_f16_e32 v137, v234, v213
	v_mul_f16_e32 v176, 0xb853, v130
	v_mul_f16_e32 v198, 0x3abb, v135
	v_mul_f16_e32 v202, 0xbb47, v130
	v_mul_f16_e32 v204, 0x36a6, v135
	v_mul_f16_e32 v206, 0xbbeb, v130
	v_mul_f16_e32 v208, 0xb08e, v135
	v_mul_f16_e32 v213, 0xba0c, v130
	v_mul_f16_e32 v215, 0xb93d, v135
	v_mul_f16_e32 v130, 0xb482, v130
	v_mul_f16_e32 v135, 0xbbad, v135
	v_fma_f16 v197, v128, s6, v176
	v_fma_f16 v199, v137, s15, v198
	v_fma_f16 v176, v128, s6, -v176
	v_fma_f16 v198, v137, s7, v198
	v_fma_f16 v203, v128, s12, v202
	v_fma_f16 v205, v137, s22, v204
	v_fma_f16 v202, v128, s12, -v202
	v_fma_f16 v204, v137, s13, v204
	;; [unrolled: 4-line block ×5, first 2 shown]
	v_sub_f16_e32 v137, v138, v212
	v_add_f16_e32 v197, v110, v197
	v_add_f16_sdwa v199, v110, v199 dst_sel:DWORD dst_unused:UNUSED_PAD src0_sel:WORD_1 src1_sel:DWORD
	v_add_f16_e32 v176, v110, v176
	v_add_f16_sdwa v198, v110, v198 dst_sel:DWORD dst_unused:UNUSED_PAD src0_sel:WORD_1 src1_sel:DWORD
	;; [unrolled: 2-line block ×10, first 2 shown]
	v_add_f16_e32 v130, v235, v136
	v_add_f16_e32 v135, v138, v212
	v_mul_f16_e32 v138, 0xbb47, v137
	v_fma_f16 v212, v130, s12, v138
	v_sub_f16_e32 v136, v235, v136
	v_add_f16_e32 v197, v212, v197
	v_mul_f16_e32 v212, 0x36a6, v135
	v_fma_f16 v138, v130, s12, -v138
	v_add_f16_e32 v138, v138, v176
	v_fma_f16 v176, v136, s13, v212
	v_add_f16_e32 v176, v176, v198
	v_mul_f16_e32 v198, 0xba0c, v137
	v_fma_f16 v219, v136, s22, v212
	v_fma_f16 v212, v130, s17, v198
	v_add_f16_e32 v203, v212, v203
	v_mul_f16_e32 v212, 0xb93d, v135
	v_fma_f16 v198, v130, s17, -v198
	v_add_f16_e32 v198, v198, v202
	v_fma_f16 v202, v136, s18, v212
	v_add_f16_e32 v202, v202, v204
	v_mul_f16_e32 v204, 0x3482, v137
	v_add_f16_e32 v199, v219, v199
	v_fma_f16 v219, v136, s24, v212
	v_fma_f16 v212, v130, s19, v204
	v_add_f16_e32 v207, v212, v207
	v_mul_f16_e32 v212, 0xbbad, v135
	v_fma_f16 v204, v130, s19, -v204
	v_add_f16_e32 v204, v204, v206
	v_fma_f16 v206, v136, s23, v212
	v_add_f16_e32 v206, v206, v208
	v_mul_f16_e32 v208, 0x3beb, v137
	v_add_f16_e32 v205, v219, v205
	v_fma_f16 v219, v136, s20, v212
	v_fma_f16 v212, v130, s14, v208
	v_add_f16_e32 v212, v212, v214
	v_mul_f16_e32 v214, 0xb08e, v135
	v_fma_f16 v208, v130, s14, -v208
	v_mul_f16_e32 v137, 0x3853, v137
	v_add_f16_e32 v209, v219, v209
	v_fma_f16 v219, v136, s16, v214
	v_add_f16_e32 v208, v208, v213
	v_fma_f16 v213, v136, s21, v214
	v_fma_f16 v214, v130, s6, v137
	v_mul_f16_e32 v135, 0x3abb, v135
	v_fma_f16 v130, v130, s6, -v137
	v_add_f16_e32 v213, v213, v215
	v_fma_f16 v215, v136, s7, v135
	v_add_f16_e32 v128, v130, v128
	v_fma_f16 v130, v136, s15, v135
	v_add_f16_e32 v135, v211, v132
	v_sub_f16_e32 v132, v211, v132
	v_add_f16_e32 v110, v130, v110
	v_add_f16_e32 v130, v210, v134
	v_mul_f16_e32 v136, 0xbbeb, v132
	v_fma_f16 v137, v130, s14, v136
	v_sub_f16_e32 v134, v210, v134
	v_add_f16_e32 v137, v137, v197
	v_mul_f16_e32 v197, 0xb08e, v135
	v_fma_f16 v136, v130, s14, -v136
	v_add_f16_e32 v136, v136, v138
	v_fma_f16 v138, v134, s16, v197
	v_add_f16_e32 v138, v138, v176
	v_mul_f16_e32 v176, 0x3482, v132
	v_fma_f16 v210, v134, s21, v197
	v_fma_f16 v197, v130, s19, v176
	v_add_f16_e32 v197, v197, v203
	v_mul_f16_e32 v203, 0xbbad, v135
	v_fma_f16 v176, v130, s19, -v176
	v_add_f16_e32 v176, v176, v198
	v_fma_f16 v198, v134, s23, v203
	v_add_f16_e32 v198, v198, v202
	v_mul_f16_e32 v202, 0x3b47, v132
	v_add_f16_e32 v199, v210, v199
	v_fma_f16 v210, v134, s20, v203
	v_fma_f16 v203, v130, s12, v202
	v_add_f16_e32 v203, v203, v207
	v_mul_f16_e32 v207, 0x36a6, v135
	v_fma_f16 v202, v130, s12, -v202
	v_add_f16_e32 v202, v202, v204
	v_fma_f16 v204, v134, s22, v207
	v_add_f16_e32 v205, v210, v205
	v_fma_f16 v210, v134, s13, v207
	v_add_f16_e32 v204, v204, v206
	v_mul_f16_e32 v206, 0xb853, v132
	v_add_f16_e32 v209, v210, v209
	v_fma_f16 v207, v130, s6, v206
	v_mul_f16_e32 v210, 0x3abb, v135
	v_fma_f16 v206, v130, s6, -v206
	v_mul_f16_e32 v132, 0xba0c, v132
	v_fma_f16 v211, v134, s15, v210
	v_add_f16_e32 v206, v206, v208
	v_fma_f16 v208, v134, s7, v210
	v_fma_f16 v210, v130, s17, v132
	v_mul_f16_e32 v135, 0xb93d, v135
	v_fma_f16 v130, v130, s17, -v132
	v_add_f16_e32 v128, v130, v128
	v_fma_f16 v130, v134, s18, v135
	v_add_f16_e32 v132, v129, v133
	v_sub_f16_e32 v129, v129, v133
	v_add_f16_e32 v110, v130, v110
	v_add_f16_e32 v130, v127, v131
	v_sub_f16_e32 v127, v127, v131
	v_mul_f16_e32 v131, 0xba0c, v129
	v_add_f16_e32 v207, v207, v212
	v_fma_f16 v212, v134, s24, v135
	v_fma_f16 v133, v130, s17, v131
	v_mul_f16_e32 v134, 0xb93d, v132
	v_fma_f16 v131, v130, s17, -v131
	v_fma_f16 v135, v127, s24, v134
	v_add_f16_e32 v131, v131, v136
	v_fma_f16 v134, v127, s18, v134
	v_mul_f16_e32 v136, 0x3beb, v129
	v_add_f16_e32 v133, v133, v137
	v_add_f16_e32 v134, v134, v138
	v_fma_f16 v137, v130, s14, v136
	v_mul_f16_e32 v138, 0xb08e, v132
	v_fma_f16 v136, v130, s14, -v136
	v_add_f16_e32 v137, v137, v197
	v_fma_f16 v197, v127, s16, v138
	v_add_f16_e32 v136, v136, v176
	v_fma_f16 v138, v127, s21, v138
	v_mul_f16_e32 v176, 0xb853, v129
	v_add_f16_e32 v135, v135, v199
	v_add_f16_e32 v138, v138, v198
	v_fma_f16 v198, v130, s6, v176
	v_mul_f16_e32 v199, 0x3abb, v132
	v_fma_f16 v176, v130, s6, -v176
	v_add_f16_e32 v198, v198, v203
	v_fma_f16 v203, v127, s15, v199
	v_add_f16_e32 v176, v176, v202
	v_fma_f16 v199, v127, s7, v199
	v_mul_f16_e32 v202, 0xb482, v129
	v_add_f16_e32 v197, v197, v205
	v_add_f16_e32 v199, v199, v204
	v_fma_f16 v204, v130, s19, v202
	v_mul_f16_e32 v205, 0xbbad, v132
	v_fma_f16 v202, v130, s19, -v202
	v_mul_f16_e32 v129, 0x3b47, v129
	v_add_f16_e32 v208, v208, v213
	v_add_f16_e32 v204, v204, v207
	v_fma_f16 v207, v127, s23, v205
	v_add_f16_e32 v202, v202, v206
	v_fma_f16 v205, v127, s20, v205
	v_fma_f16 v206, v130, s12, v129
	v_mul_f16_e32 v132, 0x36a6, v132
	v_fma_f16 v129, v130, s12, -v129
	v_add_f16_e32 v205, v205, v208
	v_fma_f16 v208, v127, s13, v132
	v_add_f16_e32 v128, v129, v128
	v_fma_f16 v127, v127, s22, v132
	v_add_f16_e32 v129, v116, v125
	v_sub_f16_e32 v116, v116, v125
	v_add_f16_e32 v110, v127, v110
	v_add_f16_e32 v127, v114, v123
	v_sub_f16_e32 v114, v114, v123
	v_mul_f16_e32 v123, 0xb482, v116
	v_fma_f16 v125, v127, s19, v123
	v_mul_f16_e32 v130, 0xbbad, v129
	v_fma_f16 v123, v127, s19, -v123
	v_fma_f16 v132, v114, s23, v130
	v_add_f16_e32 v123, v123, v131
	v_fma_f16 v130, v114, s20, v130
	v_mul_f16_e32 v131, 0x3853, v116
	v_add_f16_e32 v125, v125, v133
	v_add_f16_e32 v130, v130, v134
	v_fma_f16 v133, v127, s6, v131
	v_mul_f16_e32 v134, 0x3abb, v129
	v_fma_f16 v131, v127, s6, -v131
	v_add_f16_e32 v132, v132, v135
	v_fma_f16 v135, v114, s7, v134
	v_add_f16_e32 v131, v131, v136
	v_fma_f16 v134, v114, s15, v134
	v_mul_f16_e32 v136, 0xba0c, v116
	v_add_f16_e32 v133, v133, v137
	v_add_f16_e32 v134, v134, v138
	v_fma_f16 v137, v127, s17, v136
	v_mul_f16_e32 v138, 0xb93d, v129
	v_fma_f16 v136, v127, s17, -v136
	v_add_f16_e32 v135, v135, v197
	v_fma_f16 v197, v114, s24, v138
	v_add_f16_e32 v136, v136, v176
	v_fma_f16 v138, v114, s18, v138
	v_mul_f16_e32 v176, 0x3b47, v116
	v_add_f16_e32 v203, v203, v209
	v_add_f16_e32 v137, v137, v198
	;; [unrolled: 1-line block ×3, first 2 shown]
	v_fma_f16 v198, v127, s12, v176
	v_mul_f16_e32 v199, 0x36a6, v129
	v_mul_f16_e32 v129, 0xb08e, v129
	v_add_f16_e32 v197, v197, v203
	v_add_f16_e32 v198, v198, v204
	v_fma_f16 v203, v114, s13, v199
	v_fma_f16 v199, v114, s22, v199
	;; [unrolled: 1-line block ×4, first 2 shown]
	v_fma_f16 v176, v127, s12, -v176
	v_mul_f16_e32 v116, 0xbbeb, v116
	v_add_f16_e32 v110, v114, v110
	v_add_f16_e32 v114, v107, v91
	;; [unrolled: 1-line block ×3, first 2 shown]
	v_fma_f16 v202, v127, s14, v116
	v_fma_f16 v116, v127, s14, -v116
	v_add_f16_sdwa v127, v107, v92 dst_sel:DWORD dst_unused:UNUSED_PAD src0_sel:WORD_1 src1_sel:DWORD
	v_add_f16_e32 v114, v114, v22
	v_add_f16_e32 v127, v127, v23
	;; [unrolled: 1-line block ×23, first 2 shown]
	v_sub_f16_e32 v92, v92, v96
	v_add_f16_e32 v206, v206, v210
	v_add_f16_e32 v208, v208, v212
	;; [unrolled: 1-line block ×8, first 2 shown]
	v_sub_f16_e32 v91, v91, v95
	v_mul_f16_e32 v95, 0xb853, v92
	v_mul_f16_e32 v205, 0x3abb, v129
	;; [unrolled: 1-line block ×10, first 2 shown]
	v_add_f16_e32 v202, v202, v206
	v_add_f16_e32 v204, v204, v208
	;; [unrolled: 1-line block ×3, first 2 shown]
	v_fma_f16 v96, v128, s6, v95
	v_fma_f16 v206, v91, s15, v205
	v_fma_f16 v95, v128, s6, -v95
	v_fma_f16 v205, v91, s7, v205
	v_fma_f16 v208, v128, s12, v207
	v_fma_f16 v210, v91, s22, v209
	v_fma_f16 v207, v128, s12, -v207
	v_fma_f16 v209, v91, s13, v209
	;; [unrolled: 4-line block ×5, first 2 shown]
	v_add_f16_e32 v128, v23, v25
	v_sub_f16_e32 v23, v23, v25
	v_add_f16_e32 v96, v107, v96
	v_add_f16_sdwa v206, v107, v206 dst_sel:DWORD dst_unused:UNUSED_PAD src0_sel:WORD_1 src1_sel:DWORD
	v_add_f16_e32 v95, v107, v95
	v_add_f16_sdwa v205, v107, v205 dst_sel:DWORD dst_unused:UNUSED_PAD src0_sel:WORD_1 src1_sel:DWORD
	;; [unrolled: 2-line block ×10, first 2 shown]
	v_add_f16_e32 v107, v22, v24
	v_sub_f16_e32 v22, v22, v24
	v_mul_f16_e32 v24, 0xbb47, v23
	v_fma_f16 v25, v107, s12, v24
	v_add_f16_e32 v25, v25, v96
	v_mul_f16_e32 v96, 0x36a6, v128
	v_fma_f16 v24, v107, s12, -v24
	v_fma_f16 v129, v22, s22, v96
	v_add_f16_e32 v24, v24, v95
	v_fma_f16 v95, v22, s13, v96
	v_mul_f16_e32 v96, 0xba0c, v23
	v_add_f16_e32 v129, v129, v206
	v_add_f16_e32 v95, v95, v205
	v_fma_f16 v205, v107, s17, v96
	v_mul_f16_e32 v206, 0xb93d, v128
	v_fma_f16 v96, v107, s17, -v96
	v_add_f16_e32 v205, v205, v208
	v_fma_f16 v208, v22, s24, v206
	v_add_f16_e32 v96, v96, v207
	v_fma_f16 v206, v22, s18, v206
	v_mul_f16_e32 v207, 0x3482, v23
	v_add_f16_e32 v208, v208, v210
	v_add_f16_e32 v206, v206, v209
	v_fma_f16 v209, v107, s19, v207
	v_mul_f16_e32 v210, 0xbbad, v128
	v_fma_f16 v207, v107, s19, -v207
	v_add_f16_e32 v209, v209, v212
	v_fma_f16 v212, v22, s20, v210
	v_add_f16_e32 v207, v207, v211
	v_fma_f16 v210, v22, s23, v210
	v_mul_f16_e32 v211, 0x3beb, v23
	v_add_f16_e32 v212, v212, v214
	v_add_f16_e32 v210, v210, v213
	v_fma_f16 v213, v107, s14, v211
	v_mul_f16_e32 v214, 0xb08e, v128
	v_fma_f16 v211, v107, s14, -v211
	v_mul_f16_e32 v23, 0x3853, v23
	v_add_f16_e32 v213, v213, v216
	v_fma_f16 v216, v22, s16, v214
	v_add_f16_e32 v211, v211, v215
	v_fma_f16 v214, v22, s21, v214
	v_fma_f16 v215, v107, s6, v23
	v_mul_f16_e32 v128, 0x3abb, v128
	v_fma_f16 v23, v107, s6, -v23
	v_add_f16_e32 v214, v214, v217
	v_fma_f16 v217, v22, s7, v128
	v_add_f16_e32 v23, v23, v92
	v_fma_f16 v22, v22, s15, v128
	v_add_f16_e32 v92, v19, v21
	v_sub_f16_e32 v19, v19, v21
	v_add_f16_e32 v22, v22, v91
	v_add_f16_e32 v91, v18, v20
	v_sub_f16_e32 v18, v18, v20
	v_mul_f16_e32 v20, 0xbbeb, v19
	v_fma_f16 v21, v91, s14, v20
	v_add_f16_e32 v21, v21, v25
	v_mul_f16_e32 v25, 0xb08e, v92
	v_fma_f16 v20, v91, s14, -v20
	v_fma_f16 v107, v18, s21, v25
	v_add_f16_e32 v20, v20, v24
	v_fma_f16 v24, v18, s16, v25
	v_mul_f16_e32 v25, 0x3482, v19
	v_add_f16_e32 v24, v24, v95
	v_fma_f16 v95, v91, s19, v25
	v_mul_f16_e32 v128, 0xbbad, v92
	v_fma_f16 v25, v91, s19, -v25
	v_add_f16_e32 v107, v107, v129
	v_fma_f16 v129, v18, s20, v128
	v_add_f16_e32 v25, v25, v96
	v_fma_f16 v96, v18, s23, v128
	v_mul_f16_e32 v128, 0x3b47, v19
	v_add_f16_e32 v95, v95, v205
	v_fma_f16 v205, v91, s12, v128
	v_fma_f16 v128, v91, s12, -v128
	v_add_f16_e32 v96, v96, v206
	v_mul_f16_e32 v206, 0x36a6, v92
	v_add_f16_e32 v128, v128, v207
	v_mul_f16_e32 v207, 0xb853, v19
	v_add_f16_e32 v129, v129, v208
	v_add_f16_e32 v205, v205, v209
	v_fma_f16 v208, v18, s13, v206
	v_fma_f16 v206, v18, s22, v206
	;; [unrolled: 1-line block ×3, first 2 shown]
	v_fma_f16 v207, v91, s6, -v207
	v_mul_f16_e32 v19, 0xba0c, v19
	v_add_f16_e32 v206, v206, v210
	v_mul_f16_e32 v210, 0x3abb, v92
	v_add_f16_e32 v207, v207, v211
	v_fma_f16 v211, v91, s17, v19
	v_mul_f16_e32 v92, 0xb93d, v92
	v_fma_f16 v19, v91, s17, -v19
	v_add_f16_e32 v208, v208, v212
	v_add_f16_e32 v209, v209, v213
	v_fma_f16 v212, v18, s15, v210
	v_fma_f16 v210, v18, s7, v210
	;; [unrolled: 1-line block ×3, first 2 shown]
	v_add_f16_e32 v19, v19, v23
	v_fma_f16 v18, v18, s18, v92
	v_add_f16_e32 v23, v15, v17
	v_sub_f16_e32 v15, v15, v17
	v_add_f16_e32 v18, v18, v22
	v_add_f16_e32 v22, v14, v16
	v_sub_f16_e32 v14, v14, v16
	v_mul_f16_e32 v16, 0xba0c, v15
	v_fma_f16 v17, v22, s17, v16
	v_add_f16_e32 v17, v17, v21
	v_mul_f16_e32 v21, 0xb93d, v23
	v_fma_f16 v16, v22, s17, -v16
	v_fma_f16 v91, v14, s24, v21
	v_add_f16_e32 v16, v16, v20
	v_fma_f16 v20, v14, s18, v21
	v_mul_f16_e32 v21, 0x3beb, v15
	v_add_f16_e32 v20, v20, v24
	v_fma_f16 v24, v22, s14, v21
	v_mul_f16_e32 v92, 0xb08e, v23
	v_fma_f16 v21, v22, s14, -v21
	v_add_f16_e32 v24, v24, v95
	v_fma_f16 v95, v14, s16, v92
	v_add_f16_e32 v21, v21, v25
	v_fma_f16 v25, v14, s21, v92
	v_mul_f16_e32 v92, 0xb853, v15
	v_add_f16_e32 v25, v25, v96
	v_fma_f16 v96, v22, s6, v92
	v_fma_f16 v92, v22, s6, -v92
	v_add_f16_e32 v91, v91, v107
	v_mul_f16_e32 v107, 0x3abb, v23
	v_add_f16_e32 v92, v92, v128
	v_mul_f16_e32 v128, 0xb482, v15
	v_add_f16_e32 v95, v95, v129
	v_add_f16_e32 v96, v96, v205
	v_fma_f16 v129, v14, s15, v107
	v_fma_f16 v107, v14, s7, v107
	;; [unrolled: 1-line block ×3, first 2 shown]
	v_fma_f16 v128, v22, s19, -v128
	v_mul_f16_e32 v15, 0x3b47, v15
	v_pack_b32_f16 v8, v8, v9
	v_pack_b32_f16 v9, v28, v29
	v_add_f16_e32 v107, v107, v206
	v_mul_f16_e32 v206, 0xbbad, v23
	v_add_f16_e32 v128, v128, v207
	v_fma_f16 v207, v22, s12, v15
	v_mul_f16_e32 v23, 0x36a6, v23
	v_fma_f16 v15, v22, s12, -v15
	s_waitcnt lgkmcnt(0)
	; wave barrier
	ds_write2_b32 v188, v8, v9 offset1:7
	v_pack_b32_f16 v8, v93, v94
	v_pack_b32_f16 v9, v111, v112
	v_add_f16_e32 v129, v129, v208
	v_add_f16_e32 v205, v205, v209
	v_fma_f16 v208, v14, s23, v206
	v_fma_f16 v206, v14, s20, v206
	;; [unrolled: 1-line block ×3, first 2 shown]
	v_add_f16_e32 v15, v15, v19
	v_fma_f16 v14, v14, s22, v23
	v_add_f16_e32 v19, v11, v13
	v_sub_f16_e32 v11, v11, v13
	ds_write2_b32 v188, v8, v9 offset0:14 offset1:21
	v_pack_b32_f16 v8, v113, v117
	v_pack_b32_f16 v9, v119, v120
	v_add_f16_e32 v14, v14, v18
	v_add_f16_e32 v18, v10, v12
	v_sub_f16_e32 v10, v10, v12
	v_mul_f16_e32 v12, 0xb482, v11
	ds_write2_b32 v188, v8, v9 offset0:28 offset1:35
	v_pack_b32_f16 v8, v121, v122
	v_pack_b32_f16 v9, v115, v118
	v_fma_f16 v13, v18, s19, v12
	ds_write2_b32 v188, v8, v9 offset0:42 offset1:49
	v_pack_b32_f16 v8, v108, v109
	v_pack_b32_f16 v9, v30, v31
	v_add_f16_e32 v13, v13, v17
	v_mul_f16_e32 v17, 0xbbad, v19
	v_fma_f16 v12, v18, s19, -v12
	ds_write2_b32 v188, v8, v9 offset0:56 offset1:63
	v_pack_b32_f16 v8, v26, v27
	v_fma_f16 v22, v10, s23, v17
	v_add_f16_e32 v12, v12, v16
	v_fma_f16 v16, v10, s20, v17
	v_mul_f16_e32 v17, 0x3853, v11
	ds_write_b32 v188, v8 offset:280
	v_pack_b32_f16 v8, v124, v126
	v_pack_b32_f16 v9, v125, v132
	v_add_f16_e32 v16, v16, v20
	v_fma_f16 v20, v18, s6, v17
	v_mul_f16_e32 v23, 0x3abb, v19
	v_fma_f16 v17, v18, s6, -v17
	ds_write2_b32 v189, v8, v9 offset1:7
	v_pack_b32_f16 v8, v133, v135
	v_pack_b32_f16 v9, v137, v197
	v_add_f16_e32 v20, v20, v24
	v_fma_f16 v24, v10, s7, v23
	v_add_f16_e32 v17, v17, v21
	v_fma_f16 v21, v10, s15, v23
	v_mul_f16_e32 v23, 0xba0c, v11
	ds_write2_b32 v189, v8, v9 offset0:14 offset1:21
	v_pack_b32_f16 v8, v198, v203
	v_pack_b32_f16 v9, v202, v204
	v_add_f16_e32 v22, v22, v91
	v_add_f16_e32 v21, v21, v25
	v_fma_f16 v25, v18, s17, v23
	v_mul_f16_e32 v91, 0xb93d, v19
	v_fma_f16 v23, v18, s17, -v23
	ds_write2_b32 v189, v8, v9 offset0:28 offset1:35
	v_pack_b32_f16 v8, v116, v110
	v_pack_b32_f16 v9, v176, v199
	v_add_f16_e32 v216, v216, v218
	v_add_f16_e32 v215, v215, v219
	;; [unrolled: 1-line block ×4, first 2 shown]
	v_fma_f16 v95, v10, s24, v91
	v_add_f16_e32 v23, v23, v92
	v_fma_f16 v91, v10, s18, v91
	v_mul_f16_e32 v92, 0x3b47, v11
	ds_write2_b32 v189, v8, v9 offset0:42 offset1:49
	v_pack_b32_f16 v8, v136, v138
	v_pack_b32_f16 v9, v131, v134
	v_add_f16_e32 v212, v212, v216
	v_add_f16_e32 v211, v211, v215
	;; [unrolled: 1-line block ×5, first 2 shown]
	v_fma_f16 v96, v18, s12, v92
	v_mul_f16_e32 v107, 0x36a6, v19
	v_fma_f16 v92, v18, s12, -v92
	v_mul_f16_e32 v11, 0xbbeb, v11
	v_mul_f16_e32 v19, 0xb08e, v19
	ds_write2_b32 v189, v8, v9 offset0:56 offset1:63
	v_pack_b32_f16 v8, v123, v130
	v_add_f16_e32 v210, v210, v214
	v_add_f16_e32 v208, v208, v212
	;; [unrolled: 1-line block ×6, first 2 shown]
	v_fma_f16 v129, v10, s13, v107
	v_add_f16_e32 v92, v92, v128
	v_fma_f16 v128, v18, s14, v11
	v_fma_f16 v205, v10, s21, v19
	ds_write_b32 v189, v8 offset:280
	v_pack_b32_f16 v8, v114, v127
	v_pack_b32_f16 v9, v13, v22
	v_add_f16_e32 v206, v206, v210
	v_add_f16_e32 v129, v129, v208
	v_fma_f16 v107, v10, s22, v107
	v_add_f16_e32 v128, v128, v207
	v_add_f16_e32 v205, v205, v209
	v_fma_f16 v11, v18, s14, -v11
	v_fma_f16 v10, v10, s16, v19
	ds_write2_b32 v190, v8, v9 offset1:7
	v_pack_b32_f16 v8, v20, v24
	v_pack_b32_f16 v9, v25, v95
	v_add_f16_e32 v107, v107, v206
	v_add_f16_e32 v11, v11, v15
	;; [unrolled: 1-line block ×3, first 2 shown]
	ds_write2_b32 v190, v8, v9 offset0:14 offset1:21
	v_pack_b32_f16 v8, v96, v129
	v_pack_b32_f16 v9, v128, v205
	ds_write2_b32 v190, v8, v9 offset0:28 offset1:35
	v_pack_b32_f16 v8, v11, v10
	v_pack_b32_f16 v9, v92, v107
	;; [unrolled: 3-line block ×3, first 2 shown]
	ds_write2_b32 v190, v8, v9 offset0:56 offset1:63
	v_pack_b32_f16 v8, v12, v16
	ds_write_b32 v190, v8 offset:280
	s_and_saveexec_b64 s[4:5], s[0:1]
	s_cbranch_execz .LBB0_9
; %bb.8:
	v_mul_f16_sdwa v8, v90, v180 dst_sel:DWORD dst_unused:UNUSED_PAD src0_sel:WORD_1 src1_sel:DWORD
	v_mul_f16_sdwa v9, v0, v106 dst_sel:DWORD dst_unused:UNUSED_PAD src0_sel:WORD_1 src1_sel:DWORD
	;; [unrolled: 1-line block ×3, first 2 shown]
	v_fma_f16 v8, v90, v181, -v8
	v_fma_f16 v9, v0, v201, -v9
	v_fma_f16 v0, v0, v106, v12
	v_mul_f16_sdwa v12, v90, v181 dst_sel:DWORD dst_unused:UNUSED_PAD src0_sel:WORD_1 src1_sel:DWORD
	v_mul_f16_sdwa v15, v89, v100 dst_sel:DWORD dst_unused:UNUSED_PAD src0_sel:WORD_1 src1_sel:DWORD
	;; [unrolled: 1-line block ×4, first 2 shown]
	v_add_f16_e32 v10, v8, v9
	v_fma_f16 v12, v90, v180, v12
	v_fma_f16 v15, v89, v182, -v15
	v_fma_f16 v16, v1, v178, -v16
	v_fma_f16 v1, v1, v97, v19
	v_mul_f16_sdwa v19, v89, v182 dst_sel:DWORD dst_unused:UNUSED_PAD src0_sel:WORD_1 src1_sel:DWORD
	v_mul_f16_e32 v11, 0xbbad, v10
	v_sub_f16_e32 v13, v0, v12
	v_add_f16_e32 v17, v15, v16
	v_fma_f16 v19, v89, v100, v19
	v_fma_f16 v14, v13, s23, v11
	v_mul_f16_e32 v18, 0x3abb, v17
	v_sub_f16_e32 v20, v1, v19
	v_add_f16_e32 v14, v200, v14
	v_fma_f16 v21, v20, s7, v18
	v_add_f16_e32 v14, v21, v14
	v_mul_f16_sdwa v21, v7, v99 dst_sel:DWORD dst_unused:UNUSED_PAD src0_sel:WORD_1 src1_sel:DWORD
	v_mul_f16_sdwa v22, v2, v98 dst_sel:DWORD dst_unused:UNUSED_PAD src0_sel:WORD_1 src1_sel:DWORD
	v_mul_f16_sdwa v25, v2, v179 dst_sel:DWORD dst_unused:UNUSED_PAD src0_sel:WORD_1 src1_sel:DWORD
	v_fma_f16 v21, v7, v183, -v21
	v_fma_f16 v22, v2, v179, -v22
	v_fma_f16 v2, v2, v98, v25
	v_mul_f16_sdwa v25, v7, v183 dst_sel:DWORD dst_unused:UNUSED_PAD src0_sel:WORD_1 src1_sel:DWORD
	v_add_f16_e32 v23, v21, v22
	v_fma_f16 v7, v7, v99, v25
	v_mul_f16_e32 v24, 0xb93d, v23
	v_sub_f16_e32 v25, v2, v7
	v_fma_f16 v26, v25, s24, v24
	v_add_f16_e32 v14, v26, v14
	v_mul_f16_sdwa v26, v6, v104 dst_sel:DWORD dst_unused:UNUSED_PAD src0_sel:WORD_1 src1_sel:DWORD
	v_mul_f16_sdwa v27, v3, v101 dst_sel:DWORD dst_unused:UNUSED_PAD src0_sel:WORD_1 src1_sel:DWORD
	v_mul_f16_sdwa v30, v3, v184 dst_sel:DWORD dst_unused:UNUSED_PAD src0_sel:WORD_1 src1_sel:DWORD
	v_fma_f16 v26, v6, v185, -v26
	v_fma_f16 v27, v3, v184, -v27
	v_fma_f16 v3, v3, v101, v30
	v_mul_f16_sdwa v30, v6, v185 dst_sel:DWORD dst_unused:UNUSED_PAD src0_sel:WORD_1 src1_sel:DWORD
	v_add_f16_e32 v28, v26, v27
	v_fma_f16 v6, v6, v104, v30
	v_mul_f16_e32 v29, 0x36a6, v28
	v_sub_f16_e32 v30, v3, v6
	;; [unrolled: 13-line block ×3, first 2 shown]
	v_fma_f16 v93, v92, s21, v91
	v_sub_f16_e32 v94, v9, v8
	v_add_f16_e32 v14, v93, v14
	v_add_f16_e32 v93, v12, v0
	v_mul_f16_e32 v95, 0xb482, v94
	v_sub_f16_e32 v98, v16, v15
	v_fma_f16 v96, v93, s19, v95
	v_add_f16_e32 v97, v19, v1
	v_mul_f16_e32 v99, 0x3853, v98
	v_add_f16_e32 v96, v105, v96
	v_fma_f16 v100, v97, s6, v99
	v_sub_f16_e32 v101, v22, v21
	v_add_f16_e32 v96, v100, v96
	v_add_f16_e32 v100, v7, v2
	v_mul_f16_e32 v102, 0xba0c, v101
	v_fma_f16 v103, v100, s17, v102
	v_sub_f16_e32 v104, v27, v26
	v_add_f16_e32 v96, v103, v96
	v_add_f16_e32 v103, v6, v3
	v_mul_f16_e32 v106, 0x3b47, v104
	;; [unrolled: 5-line block ×3, first 2 shown]
	v_fma_f16 v110, v107, s14, v109
	v_add_f16_e32 v96, v110, v96
	v_mul_f16_e32 v110, 0xb93d, v10
	v_fma_f16 v111, v13, s24, v110
	v_mul_f16_e32 v112, 0xb08e, v17
	v_add_f16_e32 v111, v200, v111
	v_fma_f16 v113, v20, s16, v112
	v_add_f16_e32 v111, v113, v111
	v_mul_f16_e32 v113, 0x3abb, v23
	v_fma_f16 v114, v25, s15, v113
	v_add_f16_e32 v111, v114, v111
	v_mul_f16_e32 v114, 0xbbad, v28
	;; [unrolled: 3-line block ×4, first 2 shown]
	v_fma_f16 v117, v93, s17, v116
	v_mul_f16_e32 v118, 0x3beb, v98
	v_add_f16_e32 v117, v105, v117
	v_fma_f16 v119, v97, s14, v118
	v_add_f16_e32 v117, v119, v117
	v_mul_f16_e32 v119, 0xb853, v101
	v_fma_f16 v120, v100, s6, v119
	v_add_f16_e32 v0, v105, v0
	v_add_f16_e32 v117, v120, v117
	v_mul_f16_e32 v120, 0xb482, v104
	v_add_f16_e32 v0, v1, v0
	v_fma_f16 v121, v103, s19, v120
	v_add_f16_e32 v0, v2, v0
	v_fma_f16 v2, v13, s20, v11
	v_add_f16_e32 v117, v121, v117
	v_mul_f16_e32 v121, 0x3b47, v108
	v_add_f16_e32 v0, v3, v0
	v_add_f16_e32 v2, v200, v2
	v_fma_f16 v3, v20, s15, v18
	v_fma_f16 v122, v107, s12, v121
	v_add_f16_e32 v2, v3, v2
	v_fma_f16 v3, v25, s18, v24
	v_add_f16_e32 v117, v122, v117
	v_mul_f16_e32 v122, 0xb08e, v10
	v_add_f16_e32 v2, v3, v2
	v_fma_f16 v3, v30, s22, v29
	v_fma_f16 v123, v13, s21, v122
	v_mul_f16_e32 v124, 0xbbad, v17
	v_add_f16_e32 v2, v3, v2
	v_fma_f16 v3, v92, s16, v91
	v_add_f16_e32 v123, v200, v123
	v_fma_f16 v125, v20, s20, v124
	v_add_f16_e32 v2, v3, v2
	v_fma_f16 v3, v93, s19, -v95
	v_add_f16_e32 v123, v125, v123
	v_mul_f16_e32 v125, 0x36a6, v23
	v_add_f16_e32 v0, v4, v0
	v_add_f16_e32 v3, v105, v3
	v_fma_f16 v4, v97, s6, -v99
	v_fma_f16 v126, v25, s13, v125
	v_add_f16_e32 v3, v4, v3
	v_fma_f16 v4, v100, s17, -v102
	v_add_f16_e32 v123, v126, v123
	v_mul_f16_e32 v126, 0x3abb, v28
	v_add_f16_e32 v3, v4, v3
	v_fma_f16 v4, v103, s12, -v106
	v_fma_f16 v127, v30, s15, v126
	v_add_f16_e32 v3, v4, v3
	v_fma_f16 v4, v107, s14, -v109
	v_add_f16_e32 v123, v127, v123
	v_mul_f16_e32 v127, 0xb93d, v90
	v_add_f16_e32 v3, v4, v3
	v_fma_f16 v4, v13, s18, v110
	v_fma_f16 v128, v92, s24, v127
	v_add_f16_e32 v0, v5, v0
	v_add_f16_e32 v4, v200, v4
	v_fma_f16 v5, v20, s21, v112
	v_add_f16_e32 v123, v128, v123
	v_mul_f16_e32 v128, 0xbbeb, v94
	v_add_f16_e32 v4, v5, v4
	v_fma_f16 v5, v25, s7, v113
	v_fma_f16 v129, v93, s14, v128
	v_mul_f16_e32 v130, 0x3482, v98
	v_add_f16_e32 v4, v5, v4
	v_fma_f16 v5, v30, s20, v114
	v_add_f16_e32 v129, v105, v129
	v_fma_f16 v131, v97, s19, v130
	;; [unrolled: 2-line block ×3, first 2 shown]
	v_add_f16_e32 v129, v131, v129
	v_mul_f16_e32 v131, 0x3b47, v101
	v_add_f16_e32 v4, v5, v4
	v_fma_f16 v5, v93, s17, -v116
	v_fma_f16 v132, v100, s12, v131
	v_add_f16_e32 v0, v6, v0
	v_add_f16_e32 v5, v105, v5
	v_fma_f16 v6, v97, s14, -v118
	v_add_f16_e32 v129, v132, v129
	v_mul_f16_e32 v132, 0xb853, v104
	v_add_f16_e32 v1, v9, v200
	v_add_f16_e32 v5, v6, v5
	v_fma_f16 v6, v100, s6, -v119
	v_fma_f16 v133, v103, s6, v132
	v_add_f16_e32 v1, v16, v1
	v_add_f16_e32 v5, v6, v5
	v_fma_f16 v6, v103, s19, -v120
	v_add_f16_e32 v129, v133, v129
	v_mul_f16_e32 v133, 0xba0c, v108
	v_add_f16_e32 v1, v22, v1
	v_add_f16_e32 v5, v6, v5
	v_fma_f16 v6, v107, s12, -v121
	v_fma_f16 v134, v107, s17, v133
	v_add_f16_e32 v1, v27, v1
	v_add_f16_e32 v5, v6, v5
	v_fma_f16 v6, v13, s16, v122
	v_add_f16_e32 v129, v134, v129
	v_mul_f16_e32 v134, 0x36a6, v10
	v_add_f16_e32 v0, v7, v0
	v_add_f16_e32 v1, v89, v1
	;; [unrolled: 1-line block ×3, first 2 shown]
	v_fma_f16 v7, v20, s23, v124
	v_fma_f16 v135, v13, s22, v134
	v_mul_f16_e32 v136, 0xb93d, v17
	v_add_f16_e32 v1, v31, v1
	v_add_f16_e32 v6, v7, v6
	v_fma_f16 v7, v25, s22, v125
	v_add_f16_e32 v135, v200, v135
	v_fma_f16 v137, v20, s24, v136
	v_add_f16_e32 v1, v26, v1
	v_add_f16_e32 v6, v7, v6
	v_fma_f16 v7, v30, s7, v126
	v_add_f16_e32 v135, v137, v135
	v_mul_f16_e32 v137, 0xbbad, v23
	v_add_f16_e32 v1, v21, v1
	v_add_f16_e32 v6, v7, v6
	v_fma_f16 v7, v92, s18, v127
	v_fma_f16 v138, v25, s20, v137
	v_add_f16_e32 v1, v15, v1
	v_add_f16_e32 v6, v7, v6
	v_fma_f16 v7, v93, s14, -v128
	v_add_f16_e32 v135, v138, v135
	v_mul_f16_e32 v138, 0xb08e, v28
	v_add_f16_e32 v1, v8, v1
	v_add_f16_e32 v7, v105, v7
	v_fma_f16 v8, v97, s19, -v130
	v_fma_f16 v176, v30, s16, v138
	v_add_f16_e32 v7, v8, v7
	v_fma_f16 v8, v100, s12, -v131
	v_add_f16_e32 v135, v176, v135
	v_mul_f16_e32 v176, 0x3abb, v90
	v_add_f16_e32 v7, v8, v7
	v_fma_f16 v8, v103, s6, -v132
	v_fma_f16 v178, v92, s7, v176
	v_add_f16_e32 v7, v8, v7
	v_fma_f16 v8, v107, s17, -v133
	v_add_f16_e32 v135, v178, v135
	v_mul_f16_e32 v178, 0xbb47, v94
	v_add_f16_e32 v7, v8, v7
	v_fma_f16 v8, v13, s13, v134
	v_fma_f16 v179, v93, s12, v178
	v_mul_f16_e32 v180, 0xba0c, v98
	v_add_f16_e32 v8, v200, v8
	v_fma_f16 v9, v20, s18, v136
	v_add_f16_e32 v179, v105, v179
	v_fma_f16 v181, v97, s17, v180
	;; [unrolled: 2-line block ×3, first 2 shown]
	v_add_f16_e32 v179, v181, v179
	v_mul_f16_e32 v181, 0x3482, v101
	v_add_f16_e32 v8, v9, v8
	v_fma_f16 v9, v30, s21, v138
	v_fma_f16 v182, v100, s19, v181
	v_add_f16_e32 v8, v9, v8
	v_fma_f16 v9, v92, s15, v176
	v_add_f16_e32 v179, v182, v179
	v_mul_f16_e32 v182, 0x3beb, v104
	v_add_f16_e32 v8, v9, v8
	v_fma_f16 v9, v93, s12, -v178
	v_fma_f16 v183, v103, s14, v182
	v_add_f16_e32 v9, v105, v9
	v_fma_f16 v11, v97, s17, -v180
	v_add_f16_e32 v179, v183, v179
	v_mul_f16_e32 v183, 0x3853, v108
	v_add_f16_e32 v9, v11, v9
	v_fma_f16 v11, v100, s19, -v181
	v_fma_f16 v184, v107, s6, v183
	v_mul_f16_e32 v10, 0x3abb, v10
	v_add_f16_e32 v9, v11, v9
	v_fma_f16 v11, v103, s14, -v182
	v_add_f16_e32 v179, v184, v179
	v_fma_f16 v184, v13, s15, v10
	v_mul_f16_e32 v17, 0x36a6, v17
	v_add_f16_e32 v9, v11, v9
	v_fma_f16 v11, v107, s6, -v183
	v_fma_f16 v10, v13, s7, v10
	v_mul_f16_e32 v23, 0xb08e, v23
	v_add_f16_e32 v9, v11, v9
	v_add_f16_e32 v10, v200, v10
	v_fma_f16 v11, v20, s13, v17
	v_mul_f16_e32 v28, 0xb93d, v28
	v_add_f16_e32 v10, v11, v10
	v_fma_f16 v11, v25, s16, v23
	v_mul_f16_e32 v90, 0xbbad, v90
	;; [unrolled: 3-line block ×4, first 2 shown]
	v_add_f16_e32 v0, v19, v0
	v_add_f16_e32 v10, v11, v10
	v_fma_f16 v11, v93, s6, -v94
	v_mul_f16_e32 v101, 0xbbeb, v101
	v_add_f16_e32 v0, v12, v0
	v_add_f16_e32 v11, v105, v11
	v_fma_f16 v12, v97, s12, -v98
	v_mul_f16_e32 v104, 0xba0c, v104
	v_add_f16_e32 v11, v12, v11
	v_fma_f16 v12, v100, s14, -v101
	v_mul_f16_e32 v108, 0xb482, v108
	v_add_f16_e32 v11, v12, v11
	v_fma_f16 v12, v103, s17, -v104
	v_add_f16_e32 v11, v12, v11
	v_fma_f16 v12, v107, s19, -v108
	v_add_f16_e32 v11, v12, v11
	buffer_load_dword v12, off, s[28:31], 0 ; 4-byte Folded Reload
	v_add_f16_e32 v184, v200, v184
	v_fma_f16 v185, v20, s22, v17
	v_add_f16_e32 v184, v185, v184
	v_fma_f16 v185, v25, s21, v23
	;; [unrolled: 2-line block ×9, first 2 shown]
	v_add_f16_e32 v185, v186, v185
	v_pack_b32_f16 v0, v0, v1
	v_pack_b32_f16 v1, v185, v184
	s_waitcnt vmcnt(0)
	v_mul_u32_u24_e32 v12, 0x4d, v12
	v_add_lshl_u32 v12, v12, v177, 2
	ds_write2_b32 v12, v0, v1 offset1:7
	v_pack_b32_f16 v0, v179, v135
	v_pack_b32_f16 v1, v129, v123
	ds_write2_b32 v12, v0, v1 offset0:14 offset1:21
	v_pack_b32_f16 v0, v117, v111
	v_pack_b32_f16 v1, v96, v14
	ds_write2_b32 v12, v0, v1 offset0:28 offset1:35
	;; [unrolled: 3-line block ×4, first 2 shown]
	v_pack_b32_f16 v0, v11, v10
	ds_write_b32 v12, v0 offset:280
.LBB0_9:
	s_or_b64 exec, exec, s[4:5]
	v_add_u32_e32 v14, 0x400, v139
	s_waitcnt lgkmcnt(0)
	; wave barrier
	s_waitcnt lgkmcnt(0)
	ds_read2_b32 v[0:1], v14 offset0:74 offset1:129
	v_add_u32_e32 v19, 0xc00, v139
	ds_read2_b32 v[5:6], v19 offset0:2 offset1:57
	v_add_u32_e32 v16, 0x1000, v139
	;; [unrolled: 2-line block ×3, first 2 shown]
	s_waitcnt lgkmcnt(2)
	v_lshrrev_b32_e32 v101, 16, v1
	ds_read2_b32 v[9:10], v11 offset0:4 offset1:59
	v_mul_f16_sdwa v136, v32, v101 dst_sel:DWORD dst_unused:UNUSED_PAD src0_sel:WORD_1 src1_sel:DWORD
	s_waitcnt lgkmcnt(2)
	v_lshrrev_b32_e32 v102, 16, v5
	v_fma_f16 v136, v32, v1, v136
	v_mul_f16_sdwa v1, v32, v1 dst_sel:DWORD dst_unused:UNUSED_PAD src0_sel:WORD_1 src1_sel:DWORD
	ds_read2_b32 v[20:21], v14 offset0:184 offset1:239
	v_fma_f16 v1, v32, v101, -v1
	v_mul_f16_sdwa v32, v33, v102 dst_sel:DWORD dst_unused:UNUSED_PAD src0_sel:WORD_1 src1_sel:DWORD
	s_waitcnt lgkmcnt(2)
	v_lshrrev_b32_e32 v103, 16, v8
	v_fma_f16 v32, v33, v5, v32
	v_mul_f16_sdwa v5, v33, v5 dst_sel:DWORD dst_unused:UNUSED_PAD src0_sel:WORD_1 src1_sel:DWORD
	v_fma_f16 v5, v33, v102, -v5
	v_mul_f16_sdwa v33, v34, v103 dst_sel:DWORD dst_unused:UNUSED_PAD src0_sel:WORD_1 src1_sel:DWORD
	s_waitcnt lgkmcnt(1)
	v_lshrrev_b32_e32 v104, 16, v9
	v_fma_f16 v33, v34, v8, v33
	v_mul_f16_sdwa v8, v34, v8 dst_sel:DWORD dst_unused:UNUSED_PAD src0_sel:WORD_1 src1_sel:DWORD
	ds_read2_b32 v[22:23], v16 offset0:186 offset1:241
	v_fma_f16 v8, v34, v103, -v8
	v_mul_f16_sdwa v34, v35, v104 dst_sel:DWORD dst_unused:UNUSED_PAD src0_sel:WORD_1 src1_sel:DWORD
	s_waitcnt lgkmcnt(1)
	v_lshrrev_b32_e32 v106, 16, v20
	v_fma_f16 v34, v35, v9, v34
	v_mul_f16_sdwa v9, v35, v9 dst_sel:DWORD dst_unused:UNUSED_PAD src0_sel:WORD_1 src1_sel:DWORD
	v_fma_f16 v9, v35, v104, -v9
	v_mul_f16_sdwa v35, v36, v106 dst_sel:DWORD dst_unused:UNUSED_PAD src0_sel:WORD_1 src1_sel:DWORD
	v_lshrrev_b32_e32 v107, 16, v6
	v_fma_f16 v35, v36, v20, v35
	v_mul_f16_sdwa v20, v36, v20 dst_sel:DWORD dst_unused:UNUSED_PAD src0_sel:WORD_1 src1_sel:DWORD
	v_fma_f16 v20, v36, v106, -v20
	v_mul_f16_sdwa v36, v37, v107 dst_sel:DWORD dst_unused:UNUSED_PAD src0_sel:WORD_1 src1_sel:DWORD
	s_waitcnt lgkmcnt(0)
	v_lshrrev_b32_e32 v108, 16, v22
	v_fma_f16 v36, v37, v6, v36
	v_mul_f16_sdwa v6, v37, v6 dst_sel:DWORD dst_unused:UNUSED_PAD src0_sel:WORD_1 src1_sel:DWORD
	ds_read2_b32 v[26:27], v19 offset0:112 offset1:167
	v_fma_f16 v6, v37, v107, -v6
	v_mul_f16_sdwa v37, v38, v108 dst_sel:DWORD dst_unused:UNUSED_PAD src0_sel:WORD_1 src1_sel:DWORD
	v_lshrrev_b32_e32 v109, 16, v10
	v_fma_f16 v37, v38, v22, v37
	v_mul_f16_sdwa v22, v38, v22 dst_sel:DWORD dst_unused:UNUSED_PAD src0_sel:WORD_1 src1_sel:DWORD
	v_fma_f16 v22, v38, v108, -v22
	v_mul_f16_sdwa v38, v39, v109 dst_sel:DWORD dst_unused:UNUSED_PAD src0_sel:WORD_1 src1_sel:DWORD
	v_lshrrev_b32_e32 v111, 16, v21
	v_fma_f16 v38, v39, v10, v38
	v_mul_f16_sdwa v10, v39, v10 dst_sel:DWORD dst_unused:UNUSED_PAD src0_sel:WORD_1 src1_sel:DWORD
	ds_read2_b32 v[28:29], v11 offset0:114 offset1:169
	v_fma_f16 v10, v39, v109, -v10
	v_mul_f16_sdwa v39, v40, v111 dst_sel:DWORD dst_unused:UNUSED_PAD src0_sel:WORD_1 src1_sel:DWORD
	s_waitcnt lgkmcnt(1)
	v_lshrrev_b32_e32 v112, 16, v26
	v_add_u32_e32 v17, 0x800, v139
	v_fma_f16 v39, v40, v21, v39
	v_mul_f16_sdwa v21, v40, v21 dst_sel:DWORD dst_unused:UNUSED_PAD src0_sel:WORD_1 src1_sel:DWORD
	ds_read2_b32 v[30:31], v17 offset0:38 offset1:93
	v_fma_f16 v21, v40, v111, -v21
	v_mul_f16_sdwa v40, v41, v112 dst_sel:DWORD dst_unused:UNUSED_PAD src0_sel:WORD_1 src1_sel:DWORD
	v_lshrrev_b32_e32 v113, 16, v23
	v_fma_f16 v40, v41, v26, v40
	v_mul_f16_sdwa v26, v41, v26 dst_sel:DWORD dst_unused:UNUSED_PAD src0_sel:WORD_1 src1_sel:DWORD
	v_fma_f16 v26, v41, v112, -v26
	v_mul_f16_sdwa v41, v42, v113 dst_sel:DWORD dst_unused:UNUSED_PAD src0_sel:WORD_1 src1_sel:DWORD
	s_waitcnt lgkmcnt(1)
	v_lshrrev_b32_e32 v114, 16, v28
	v_add_u32_e32 v18, 0x1400, v139
	v_fma_f16 v41, v42, v23, v41
	v_mul_f16_sdwa v23, v42, v23 dst_sel:DWORD dst_unused:UNUSED_PAD src0_sel:WORD_1 src1_sel:DWORD
	ds_read2_b32 v[89:90], v18 offset0:40 offset1:95
	v_fma_f16 v23, v42, v113, -v23
	v_mul_f16_sdwa v42, v43, v114 dst_sel:DWORD dst_unused:UNUSED_PAD src0_sel:WORD_1 src1_sel:DWORD
	s_waitcnt lgkmcnt(1)
	v_lshrrev_b32_e32 v116, 16, v30
	v_fma_f16 v42, v43, v28, v42
	v_mul_f16_sdwa v28, v43, v28 dst_sel:DWORD dst_unused:UNUSED_PAD src0_sel:WORD_1 src1_sel:DWORD
	v_fma_f16 v28, v43, v114, -v28
	v_mul_f16_sdwa v43, v44, v116 dst_sel:DWORD dst_unused:UNUSED_PAD src0_sel:WORD_1 src1_sel:DWORD
	v_lshrrev_b32_e32 v117, 16, v27
	v_fma_f16 v43, v44, v30, v43
	v_mul_f16_sdwa v30, v44, v30 dst_sel:DWORD dst_unused:UNUSED_PAD src0_sel:WORD_1 src1_sel:DWORD
	v_fma_f16 v30, v44, v116, -v30
	v_mul_f16_sdwa v44, v45, v117 dst_sel:DWORD dst_unused:UNUSED_PAD src0_sel:WORD_1 src1_sel:DWORD
	s_waitcnt lgkmcnt(0)
	v_lshrrev_b32_e32 v118, 16, v89
	v_add_u32_e32 v12, 0xe00, v139
	v_fma_f16 v44, v45, v27, v44
	v_mul_f16_sdwa v27, v45, v27 dst_sel:DWORD dst_unused:UNUSED_PAD src0_sel:WORD_1 src1_sel:DWORD
	ds_read2_b32 v[93:94], v12 offset0:94 offset1:149
	v_fma_f16 v27, v45, v117, -v27
	v_mul_f16_sdwa v45, v46, v118 dst_sel:DWORD dst_unused:UNUSED_PAD src0_sel:WORD_1 src1_sel:DWORD
	v_lshrrev_b32_e32 v119, 16, v29
	v_fma_f16 v45, v46, v89, v45
	v_mul_f16_sdwa v89, v46, v89 dst_sel:DWORD dst_unused:UNUSED_PAD src0_sel:WORD_1 src1_sel:DWORD
	v_fma_f16 v46, v46, v118, -v89
	v_mul_f16_sdwa v89, v47, v119 dst_sel:DWORD dst_unused:UNUSED_PAD src0_sel:WORD_1 src1_sel:DWORD
	v_lshrrev_b32_e32 v121, 16, v31
	v_add_u32_e32 v15, 0x1a00, v139
	v_fma_f16 v89, v47, v29, v89
	v_mul_f16_sdwa v29, v47, v29 dst_sel:DWORD dst_unused:UNUSED_PAD src0_sel:WORD_1 src1_sel:DWORD
	ds_read2_b32 v[95:96], v15 offset0:96 offset1:151
	v_fma_f16 v29, v47, v119, -v29
	v_mul_f16_sdwa v47, v48, v121 dst_sel:DWORD dst_unused:UNUSED_PAD src0_sel:WORD_1 src1_sel:DWORD
	s_waitcnt lgkmcnt(1)
	v_lshrrev_b32_e32 v122, 16, v93
	v_fma_f16 v47, v48, v31, v47
	v_mul_f16_sdwa v31, v48, v31 dst_sel:DWORD dst_unused:UNUSED_PAD src0_sel:WORD_1 src1_sel:DWORD
	ds_read2_b32 v[97:98], v17 offset0:148 offset1:203
	v_fma_f16 v31, v48, v121, -v31
	v_mul_f16_sdwa v48, v49, v122 dst_sel:DWORD dst_unused:UNUSED_PAD src0_sel:WORD_1 src1_sel:DWORD
	v_lshrrev_b32_e32 v123, 16, v90
	v_fma_f16 v48, v49, v93, v48
	v_mul_f16_sdwa v93, v49, v93 dst_sel:DWORD dst_unused:UNUSED_PAD src0_sel:WORD_1 src1_sel:DWORD
	v_fma_f16 v49, v49, v122, -v93
	v_mul_f16_sdwa v93, v50, v123 dst_sel:DWORD dst_unused:UNUSED_PAD src0_sel:WORD_1 src1_sel:DWORD
	s_waitcnt lgkmcnt(1)
	v_lshrrev_b32_e32 v124, 16, v95
	v_fma_f16 v93, v50, v90, v93
	v_mul_f16_sdwa v90, v50, v90 dst_sel:DWORD dst_unused:UNUSED_PAD src0_sel:WORD_1 src1_sel:DWORD
	ds_read2_b32 v[99:100], v18 offset0:150 offset1:205
	v_fma_f16 v50, v50, v123, -v90
	v_mul_f16_sdwa v90, v51, v124 dst_sel:DWORD dst_unused:UNUSED_PAD src0_sel:WORD_1 src1_sel:DWORD
	s_waitcnt lgkmcnt(1)
	v_lshrrev_b32_e32 v126, 16, v97
	v_fma_f16 v90, v51, v95, v90
	v_mul_f16_sdwa v95, v51, v95 dst_sel:DWORD dst_unused:UNUSED_PAD src0_sel:WORD_1 src1_sel:DWORD
	v_fma_f16 v51, v51, v124, -v95
	v_mul_f16_sdwa v95, v52, v126 dst_sel:DWORD dst_unused:UNUSED_PAD src0_sel:WORD_1 src1_sel:DWORD
	v_lshrrev_b32_e32 v127, 16, v94
	v_fma_f16 v95, v52, v97, v95
	v_mul_f16_sdwa v97, v52, v97 dst_sel:DWORD dst_unused:UNUSED_PAD src0_sel:WORD_1 src1_sel:DWORD
	v_fma_f16 v52, v52, v126, -v97
	v_mul_f16_sdwa v97, v53, v127 dst_sel:DWORD dst_unused:UNUSED_PAD src0_sel:WORD_1 src1_sel:DWORD
	s_waitcnt lgkmcnt(0)
	v_lshrrev_b32_e32 v128, 16, v99
	v_fma_f16 v97, v53, v94, v97
	v_mul_f16_sdwa v94, v53, v94 dst_sel:DWORD dst_unused:UNUSED_PAD src0_sel:WORD_1 src1_sel:DWORD
	v_fma_f16 v53, v53, v127, -v94
	v_mul_f16_sdwa v94, v54, v128 dst_sel:DWORD dst_unused:UNUSED_PAD src0_sel:WORD_1 src1_sel:DWORD
	v_lshrrev_b32_e32 v129, 16, v96
	v_fma_f16 v94, v54, v99, v94
	v_mul_f16_sdwa v99, v54, v99 dst_sel:DWORD dst_unused:UNUSED_PAD src0_sel:WORD_1 src1_sel:DWORD
	v_fma_f16 v54, v54, v128, -v99
	v_mul_f16_sdwa v99, v55, v129 dst_sel:DWORD dst_unused:UNUSED_PAD src0_sel:WORD_1 src1_sel:DWORD
	ds_read2_b32 v[3:4], v139 offset1:55
	v_lshrrev_b32_e32 v132, 16, v98
	v_fma_f16 v99, v55, v96, v99
	v_mul_f16_sdwa v96, v55, v96 dst_sel:DWORD dst_unused:UNUSED_PAD src0_sel:WORD_1 src1_sel:DWORD
	ds_read_b32 v130, v139 offset:7480
	v_fma_f16 v55, v55, v129, -v96
	v_mul_f16_sdwa v96, v56, v132 dst_sel:DWORD dst_unused:UNUSED_PAD src0_sel:WORD_1 src1_sel:DWORD
	v_lshrrev_b32_e32 v133, 16, v7
	v_fma_f16 v96, v56, v98, v96
	v_mul_f16_sdwa v98, v56, v98 dst_sel:DWORD dst_unused:UNUSED_PAD src0_sel:WORD_1 src1_sel:DWORD
	v_fma_f16 v56, v56, v132, -v98
	v_mul_f16_sdwa v98, v57, v133 dst_sel:DWORD dst_unused:UNUSED_PAD src0_sel:WORD_1 src1_sel:DWORD
	v_lshrrev_b32_e32 v134, 16, v100
	v_fma_f16 v98, v57, v7, v98
	v_mul_f16_sdwa v7, v57, v7 dst_sel:DWORD dst_unused:UNUSED_PAD src0_sel:WORD_1 src1_sel:DWORD
	v_add_f16_e32 v102, v32, v33
	v_fma_f16 v7, v57, v133, -v7
	v_mul_f16_sdwa v57, v58, v134 dst_sel:DWORD dst_unused:UNUSED_PAD src0_sel:WORD_1 src1_sel:DWORD
	s_waitcnt lgkmcnt(1)
	v_fma_f16 v102, v102, -0.5, v3
	v_sub_f16_e32 v103, v1, v9
	s_mov_b32 s1, 0xbb9c
	s_movk_i32 s5, 0x3b9c
	s_waitcnt lgkmcnt(0)
	v_lshrrev_b32_e32 v135, 16, v130
	v_fma_f16 v57, v58, v100, v57
	v_mul_f16_sdwa v100, v58, v100 dst_sel:DWORD dst_unused:UNUSED_PAD src0_sel:WORD_1 src1_sel:DWORD
	v_fma_f16 v104, v103, s1, v102
	v_sub_f16_e32 v106, v5, v8
	s_mov_b32 s0, 0xb8b4
	v_sub_f16_e32 v107, v136, v32
	v_sub_f16_e32 v108, v34, v33
	v_fma_f16 v102, v103, s5, v102
	s_movk_i32 s6, 0x38b4
	v_fma_f16 v58, v58, v134, -v100
	v_mul_f16_sdwa v100, v59, v135 dst_sel:DWORD dst_unused:UNUSED_PAD src0_sel:WORD_1 src1_sel:DWORD
	v_mul_f16_sdwa v101, v59, v130 dst_sel:DWORD dst_unused:UNUSED_PAD src0_sel:WORD_1 src1_sel:DWORD
	v_fma_f16 v104, v106, s0, v104
	v_add_f16_e32 v107, v107, v108
	s_movk_i32 s4, 0x34f2
	v_fma_f16 v102, v106, s6, v102
	v_fma_f16 v100, v59, v130, v100
	v_fma_f16 v59, v59, v135, -v101
	v_add_f16_e32 v101, v3, v136
	v_fma_f16 v104, v107, s4, v104
	v_fma_f16 v102, v107, s4, v102
	v_add_f16_e32 v107, v136, v34
	v_lshrrev_b32_e32 v13, 16, v3
	v_add_f16_e32 v101, v101, v32
	v_fma_f16 v3, v107, -0.5, v3
	v_add_f16_e32 v101, v101, v33
	v_fma_f16 v107, v106, s5, v3
	v_sub_f16_e32 v108, v32, v136
	v_sub_f16_e32 v109, v33, v34
	v_fma_f16 v3, v106, s1, v3
	v_add_f16_e32 v106, v5, v8
	v_add_f16_e32 v101, v101, v34
	v_fma_f16 v107, v103, s0, v107
	v_add_f16_e32 v108, v108, v109
	v_fma_f16 v3, v103, s6, v3
	v_fma_f16 v106, v106, -0.5, v13
	v_sub_f16_e32 v34, v136, v34
	v_fma_f16 v107, v108, s4, v107
	v_fma_f16 v3, v108, s4, v3
	;; [unrolled: 1-line block ×3, first 2 shown]
	v_sub_f16_e32 v32, v32, v33
	v_fma_f16 v33, v32, s6, v108
	v_sub_f16_e32 v108, v1, v5
	v_sub_f16_e32 v109, v9, v8
	v_fma_f16 v106, v34, s1, v106
	v_add_f16_e32 v103, v13, v1
	v_add_f16_e32 v108, v108, v109
	v_fma_f16 v106, v32, s0, v106
	v_add_f16_e32 v103, v103, v5
	v_fma_f16 v33, v108, s4, v33
	v_fma_f16 v106, v108, s4, v106
	v_add_f16_e32 v108, v1, v9
	v_add_f16_e32 v103, v103, v8
	v_fma_f16 v13, v108, -0.5, v13
	v_add_f16_e32 v103, v103, v9
	v_fma_f16 v108, v32, s1, v13
	v_sub_f16_e32 v1, v5, v1
	v_sub_f16_e32 v5, v8, v9
	v_add_f16_e32 v9, v36, v37
	v_fma_f16 v108, v34, s6, v108
	v_add_f16_e32 v1, v1, v5
	v_fma_f16 v8, v32, s5, v13
	v_fma_f16 v9, v9, -0.5, v4
	v_sub_f16_e32 v13, v20, v10
	v_fma_f16 v5, v1, s4, v108
	v_fma_f16 v8, v34, s0, v8
	;; [unrolled: 1-line block ×3, first 2 shown]
	v_sub_f16_e32 v34, v6, v22
	v_sub_f16_e32 v108, v35, v36
	;; [unrolled: 1-line block ×3, first 2 shown]
	v_fma_f16 v9, v13, s5, v9
	v_fma_f16 v32, v34, s0, v32
	v_add_f16_e32 v108, v108, v109
	v_fma_f16 v9, v34, s6, v9
	v_fma_f16 v32, v108, s4, v32
	;; [unrolled: 1-line block ×3, first 2 shown]
	v_add_f16_e32 v108, v35, v38
	v_lshrrev_b32_e32 v105, 16, v4
	v_fma_f16 v1, v1, s4, v8
	v_add_f16_e32 v8, v4, v35
	v_fma_f16 v4, v108, -0.5, v4
	v_add_f16_e32 v8, v8, v36
	v_fma_f16 v108, v34, s5, v4
	v_fma_f16 v4, v34, s1, v4
	v_add_f16_e32 v34, v6, v22
	v_add_f16_e32 v8, v8, v37
	v_sub_f16_e32 v109, v36, v35
	v_sub_f16_e32 v111, v37, v38
	v_fma_f16 v34, v34, -0.5, v105
	v_sub_f16_e32 v35, v35, v38
	v_add_f16_e32 v8, v8, v38
	v_fma_f16 v108, v13, s0, v108
	v_add_f16_e32 v109, v109, v111
	v_fma_f16 v4, v13, s6, v4
	v_fma_f16 v38, v35, s5, v34
	v_sub_f16_e32 v36, v36, v37
	ds_read2_b32 v[24:25], v139 offset0:110 offset1:165
	v_fma_f16 v108, v109, s4, v108
	v_fma_f16 v4, v109, s4, v4
	;; [unrolled: 1-line block ×3, first 2 shown]
	v_sub_f16_e32 v38, v20, v6
	v_sub_f16_e32 v109, v10, v22
	v_fma_f16 v34, v35, s1, v34
	v_add_f16_e32 v13, v105, v20
	v_add_f16_e32 v38, v38, v109
	v_fma_f16 v34, v36, s0, v34
	v_add_f16_e32 v13, v13, v6
	v_fma_f16 v37, v38, s4, v37
	v_fma_f16 v34, v38, s4, v34
	v_add_f16_e32 v38, v20, v10
	v_add_f16_e32 v13, v13, v22
	v_fma_f16 v38, v38, -0.5, v105
	v_add_f16_e32 v13, v13, v10
	v_fma_f16 v105, v36, s1, v38
	v_sub_f16_e32 v6, v6, v20
	v_sub_f16_e32 v10, v22, v10
	v_fma_f16 v20, v36, s5, v38
	v_add_f16_e32 v22, v40, v41
	v_fma_f16 v105, v35, s6, v105
	v_add_f16_e32 v6, v6, v10
	v_fma_f16 v20, v35, s0, v20
	s_waitcnt lgkmcnt(0)
	v_fma_f16 v22, v22, -0.5, v24
	v_sub_f16_e32 v35, v21, v28
	v_fma_f16 v10, v6, s4, v105
	v_fma_f16 v36, v35, s1, v22
	v_sub_f16_e32 v38, v26, v23
	v_sub_f16_e32 v105, v39, v40
	;; [unrolled: 1-line block ×3, first 2 shown]
	v_fma_f16 v22, v35, s5, v22
	v_fma_f16 v36, v38, s0, v36
	v_add_f16_e32 v105, v105, v109
	v_fma_f16 v22, v38, s6, v22
	v_fma_f16 v36, v105, s4, v36
	;; [unrolled: 1-line block ×3, first 2 shown]
	v_add_f16_e32 v105, v39, v42
	v_lshrrev_b32_e32 v110, 16, v24
	v_fma_f16 v6, v6, s4, v20
	v_add_f16_e32 v20, v24, v39
	v_fma_f16 v24, v105, -0.5, v24
	v_add_f16_e32 v20, v20, v40
	v_fma_f16 v105, v38, s5, v24
	v_fma_f16 v24, v38, s1, v24
	v_add_f16_e32 v38, v26, v23
	v_add_f16_e32 v20, v20, v41
	v_sub_f16_e32 v109, v40, v39
	v_sub_f16_e32 v111, v41, v42
	v_fma_f16 v38, v38, -0.5, v110
	v_sub_f16_e32 v39, v39, v42
	v_add_f16_e32 v20, v20, v42
	v_fma_f16 v105, v35, s0, v105
	v_add_f16_e32 v109, v109, v111
	v_fma_f16 v24, v35, s6, v24
	v_fma_f16 v42, v39, s5, v38
	v_sub_f16_e32 v40, v40, v41
	v_fma_f16 v105, v109, s4, v105
	v_fma_f16 v24, v109, s4, v24
	;; [unrolled: 1-line block ×3, first 2 shown]
	v_sub_f16_e32 v42, v21, v26
	v_sub_f16_e32 v109, v28, v23
	v_fma_f16 v38, v39, s1, v38
	v_add_f16_e32 v35, v110, v21
	v_add_f16_e32 v42, v42, v109
	v_fma_f16 v38, v40, s0, v38
	v_add_f16_e32 v35, v35, v26
	v_fma_f16 v41, v42, s4, v41
	v_fma_f16 v38, v42, s4, v38
	v_add_f16_e32 v42, v21, v28
	v_add_f16_e32 v35, v35, v23
	v_fma_f16 v42, v42, -0.5, v110
	v_add_f16_e32 v35, v35, v28
	v_fma_f16 v109, v40, s1, v42
	v_sub_f16_e32 v21, v26, v21
	v_sub_f16_e32 v23, v23, v28
	v_fma_f16 v26, v40, s5, v42
	v_add_f16_e32 v28, v44, v45
	v_fma_f16 v109, v39, s6, v109
	v_add_f16_e32 v21, v21, v23
	v_fma_f16 v26, v39, s0, v26
	v_fma_f16 v28, v28, -0.5, v25
	v_sub_f16_e32 v39, v30, v29
	v_fma_f16 v23, v21, s4, v109
	v_fma_f16 v40, v39, s1, v28
	v_sub_f16_e32 v42, v27, v46
	v_sub_f16_e32 v109, v43, v44
	;; [unrolled: 1-line block ×3, first 2 shown]
	v_fma_f16 v28, v39, s5, v28
	v_fma_f16 v40, v42, s0, v40
	v_add_f16_e32 v109, v109, v110
	v_fma_f16 v28, v42, s6, v28
	v_fma_f16 v40, v109, s4, v40
	;; [unrolled: 1-line block ×3, first 2 shown]
	v_add_f16_e32 v109, v43, v89
	v_lshrrev_b32_e32 v115, 16, v25
	v_fma_f16 v21, v21, s4, v26
	v_add_f16_e32 v26, v25, v43
	v_fma_f16 v25, v109, -0.5, v25
	v_add_f16_e32 v26, v26, v44
	v_fma_f16 v109, v42, s5, v25
	v_fma_f16 v25, v42, s1, v25
	v_add_f16_e32 v42, v27, v46
	v_add_f16_e32 v26, v26, v45
	v_sub_f16_e32 v110, v44, v43
	v_sub_f16_e32 v111, v45, v89
	v_fma_f16 v42, v42, -0.5, v115
	v_sub_f16_e32 v43, v43, v89
	v_add_f16_e32 v26, v26, v89
	v_fma_f16 v109, v39, s0, v109
	v_add_f16_e32 v110, v110, v111
	v_fma_f16 v25, v39, s6, v25
	v_fma_f16 v89, v43, s5, v42
	v_sub_f16_e32 v44, v44, v45
	v_add_u32_e32 v2, 0x200, v139
	v_fma_f16 v109, v110, s4, v109
	v_fma_f16 v25, v110, s4, v25
	;; [unrolled: 1-line block ×3, first 2 shown]
	v_sub_f16_e32 v89, v30, v27
	v_sub_f16_e32 v110, v29, v46
	v_fma_f16 v42, v43, s1, v42
	ds_read2_b32 v[91:92], v2 offset0:92 offset1:147
	v_add_f16_e32 v89, v89, v110
	v_fma_f16 v42, v44, s0, v42
	v_add_f16_e32 v39, v115, v30
	v_fma_f16 v45, v89, s4, v45
	v_fma_f16 v42, v89, s4, v42
	v_add_f16_e32 v89, v30, v29
	v_add_f16_e32 v39, v39, v27
	v_fma_f16 v89, v89, -0.5, v115
	v_add_f16_e32 v39, v39, v46
	v_fma_f16 v110, v44, s1, v89
	v_sub_f16_e32 v27, v27, v30
	v_fma_f16 v30, v44, s5, v89
	v_add_f16_e32 v39, v39, v29
	v_fma_f16 v110, v43, s6, v110
	v_sub_f16_e32 v29, v46, v29
	v_fma_f16 v30, v43, s0, v30
	v_add_f16_e32 v43, v48, v93
	v_add_f16_e32 v27, v27, v29
	s_waitcnt lgkmcnt(0)
	v_fma_f16 v43, v43, -0.5, v91
	v_sub_f16_e32 v44, v31, v51
	v_fma_f16 v29, v27, s4, v110
	v_fma_f16 v46, v44, s1, v43
	v_sub_f16_e32 v89, v49, v50
	v_sub_f16_e32 v110, v47, v48
	;; [unrolled: 1-line block ×3, first 2 shown]
	v_fma_f16 v43, v44, s5, v43
	v_fma_f16 v46, v89, s0, v46
	v_add_f16_e32 v110, v110, v111
	v_fma_f16 v43, v89, s6, v43
	v_fma_f16 v46, v110, s4, v46
	;; [unrolled: 1-line block ×3, first 2 shown]
	v_add_f16_e32 v110, v47, v90
	v_lshrrev_b32_e32 v120, 16, v91
	v_fma_f16 v27, v27, s4, v30
	v_add_f16_e32 v30, v91, v47
	v_fma_f16 v91, v110, -0.5, v91
	v_add_f16_e32 v30, v30, v48
	v_fma_f16 v110, v89, s5, v91
	v_sub_f16_e32 v111, v48, v47
	v_sub_f16_e32 v112, v93, v90
	v_fma_f16 v89, v89, s1, v91
	v_add_f16_e32 v91, v49, v50
	v_add_f16_e32 v30, v30, v93
	v_fma_f16 v110, v44, s0, v110
	v_add_f16_e32 v111, v111, v112
	v_fma_f16 v44, v44, s6, v89
	v_fma_f16 v91, v91, -0.5, v120
	v_sub_f16_e32 v47, v47, v90
	v_add_f16_e32 v30, v30, v90
	v_fma_f16 v110, v111, s4, v110
	v_fma_f16 v44, v111, s4, v44
	;; [unrolled: 1-line block ×3, first 2 shown]
	v_sub_f16_e32 v48, v48, v93
	v_sub_f16_e32 v93, v31, v49
	;; [unrolled: 1-line block ×3, first 2 shown]
	v_fma_f16 v91, v47, s1, v91
	v_fma_f16 v90, v48, s6, v90
	v_add_f16_e32 v93, v93, v111
	v_fma_f16 v91, v48, s0, v91
	v_fma_f16 v90, v93, s4, v90
	;; [unrolled: 1-line block ×3, first 2 shown]
	v_add_f16_e32 v93, v31, v51
	v_fma_f16 v93, v93, -0.5, v120
	v_add_f16_e32 v89, v120, v31
	v_fma_f16 v111, v48, s1, v93
	v_fma_f16 v48, v48, s5, v93
	v_add_f16_e32 v89, v89, v49
	v_fma_f16 v111, v47, s6, v111
	v_sub_f16_e32 v31, v49, v31
	v_sub_f16_e32 v49, v50, v51
	v_fma_f16 v47, v47, s0, v48
	v_add_f16_e32 v48, v97, v94
	v_add_f16_e32 v89, v89, v50
	;; [unrolled: 1-line block ×3, first 2 shown]
	v_fma_f16 v48, v48, -0.5, v92
	v_sub_f16_e32 v50, v52, v55
	v_add_f16_e32 v89, v89, v51
	v_fma_f16 v49, v31, s4, v111
	v_fma_f16 v51, v50, s1, v48
	v_sub_f16_e32 v93, v53, v54
	v_sub_f16_e32 v111, v95, v97
	;; [unrolled: 1-line block ×3, first 2 shown]
	v_fma_f16 v48, v50, s5, v48
	v_fma_f16 v51, v93, s0, v51
	v_add_f16_e32 v111, v111, v112
	v_fma_f16 v48, v93, s6, v48
	v_fma_f16 v51, v111, s4, v51
	v_fma_f16 v48, v111, s4, v48
	v_add_f16_e32 v111, v95, v99
	v_lshrrev_b32_e32 v125, 16, v92
	v_fma_f16 v31, v31, s4, v47
	v_add_f16_e32 v47, v92, v95
	v_fma_f16 v92, v111, -0.5, v92
	v_add_f16_e32 v47, v47, v97
	v_fma_f16 v111, v93, s5, v92
	v_fma_f16 v92, v93, s1, v92
	v_add_f16_e32 v93, v53, v54
	v_add_f16_e32 v47, v47, v94
	v_sub_f16_e32 v112, v97, v95
	v_sub_f16_e32 v113, v94, v99
	v_fma_f16 v93, v93, -0.5, v125
	v_sub_f16_e32 v95, v95, v99
	v_add_f16_e32 v47, v47, v99
	v_fma_f16 v111, v50, s0, v111
	v_add_f16_e32 v112, v112, v113
	v_fma_f16 v50, v50, s6, v92
	v_fma_f16 v99, v95, s5, v93
	v_sub_f16_e32 v94, v97, v94
	v_fma_f16 v111, v112, s4, v111
	v_fma_f16 v50, v112, s4, v50
	;; [unrolled: 1-line block ×3, first 2 shown]
	v_sub_f16_e32 v99, v52, v53
	v_sub_f16_e32 v112, v55, v54
	v_fma_f16 v93, v95, s1, v93
	v_add_f16_e32 v92, v125, v52
	v_add_f16_e32 v99, v99, v112
	v_fma_f16 v93, v94, s0, v93
	v_add_f16_e32 v92, v92, v53
	v_fma_f16 v97, v99, s4, v97
	v_fma_f16 v93, v99, s4, v93
	v_add_f16_e32 v99, v52, v55
	v_add_f16_e32 v92, v92, v54
	v_fma_f16 v99, v99, -0.5, v125
	v_add_f16_e32 v92, v92, v55
	v_fma_f16 v112, v94, s1, v99
	v_sub_f16_e32 v52, v53, v52
	v_sub_f16_e32 v53, v54, v55
	v_add_f16_e32 v55, v98, v57
	v_fma_f16 v112, v95, s6, v112
	v_add_f16_e32 v52, v52, v53
	v_fma_f16 v54, v94, s5, v99
	v_fma_f16 v55, v55, -0.5, v0
	v_sub_f16_e32 v94, v56, v59
	v_fma_f16 v53, v52, s4, v112
	v_fma_f16 v54, v95, s0, v54
	;; [unrolled: 1-line block ×3, first 2 shown]
	v_sub_f16_e32 v99, v7, v58
	v_sub_f16_e32 v112, v96, v98
	v_sub_f16_e32 v113, v100, v57
	v_fma_f16 v55, v94, s5, v55
	v_fma_f16 v95, v99, s0, v95
	v_add_f16_e32 v112, v112, v113
	v_fma_f16 v55, v99, s6, v55
	v_fma_f16 v95, v112, s4, v95
	;; [unrolled: 1-line block ×3, first 2 shown]
	v_add_f16_e32 v112, v96, v100
	v_lshrrev_b32_e32 v131, 16, v0
	v_fma_f16 v52, v52, s4, v54
	v_add_f16_e32 v54, v0, v96
	v_fma_f16 v0, v112, -0.5, v0
	v_add_f16_e32 v54, v54, v98
	v_fma_f16 v112, v99, s5, v0
	v_fma_f16 v0, v99, s1, v0
	v_add_f16_e32 v99, v7, v58
	v_add_f16_e32 v54, v54, v57
	v_sub_f16_e32 v113, v98, v96
	v_sub_f16_e32 v114, v57, v100
	v_fma_f16 v99, v99, -0.5, v131
	v_sub_f16_e32 v96, v96, v100
	v_add_f16_e32 v54, v54, v100
	v_fma_f16 v112, v94, s0, v112
	v_add_f16_e32 v113, v113, v114
	v_fma_f16 v0, v94, s6, v0
	v_fma_f16 v100, v96, s5, v99
	v_sub_f16_e32 v57, v98, v57
	v_fma_f16 v112, v113, s4, v112
	v_fma_f16 v0, v113, s4, v0
	v_fma_f16 v98, v57, s6, v100
	v_sub_f16_e32 v100, v56, v7
	v_sub_f16_e32 v113, v59, v58
	v_fma_f16 v99, v96, s1, v99
	v_add_f16_e32 v100, v100, v113
	v_fma_f16 v99, v57, s0, v99
	v_fma_f16 v98, v100, s4, v98
	;; [unrolled: 1-line block ×3, first 2 shown]
	v_add_f16_e32 v100, v56, v59
	v_add_f16_e32 v94, v131, v56
	v_fma_f16 v100, v100, -0.5, v131
	v_add_f16_e32 v94, v94, v7
	v_fma_f16 v113, v57, s1, v100
	v_sub_f16_e32 v7, v7, v56
	v_sub_f16_e32 v56, v58, v59
	v_fma_f16 v57, v57, s5, v100
	v_pack_b32_f16 v5, v107, v5
	v_pack_b32_f16 v1, v3, v1
	v_fma_f16 v113, v96, s6, v113
	v_add_f16_e32 v7, v7, v56
	v_fma_f16 v57, v96, s0, v57
	s_waitcnt lgkmcnt(0)
	; wave barrier
	ds_write2_b32 v139, v5, v1 offset0:154 offset1:231
	v_pack_b32_f16 v1, v102, v106
	v_fma_f16 v56, v7, s4, v113
	v_fma_f16 v7, v7, s4, v57
	v_pack_b32_f16 v57, v101, v103
	v_pack_b32_f16 v33, v104, v33
	ds_write_b32 v139, v1 offset:1232
	v_pack_b32_f16 v1, v8, v13
	v_pack_b32_f16 v3, v32, v37
	ds_write2_b32 v139, v57, v33 offset1:77
	ds_write2_b32 v191, v1, v3 offset1:77
	v_pack_b32_f16 v1, v108, v10
	v_pack_b32_f16 v3, v4, v6
	ds_write2_b32 v191, v1, v3 offset0:154 offset1:231
	v_pack_b32_f16 v1, v9, v34
	ds_write_b32 v191, v1 offset:1232
	v_pack_b32_f16 v1, v20, v35
	v_pack_b32_f16 v3, v36, v41
	ds_write2_b32 v192, v1, v3 offset1:77
	v_pack_b32_f16 v1, v105, v23
	v_pack_b32_f16 v3, v24, v21
	ds_write2_b32 v192, v1, v3 offset0:154 offset1:231
	v_pack_b32_f16 v1, v22, v38
	ds_write_b32 v192, v1 offset:1232
	v_pack_b32_f16 v1, v26, v39
	v_pack_b32_f16 v3, v40, v45
	v_add_u32_e32 v4, 0xc00, v193
	ds_write2_b32 v4, v1, v3 offset0:2 offset1:79
	v_pack_b32_f16 v1, v109, v29
	v_pack_b32_f16 v3, v25, v27
	ds_write2_b32 v4, v1, v3 offset0:156 offset1:233
	v_pack_b32_f16 v1, v28, v42
	ds_write_b32 v193, v1 offset:4312
	v_pack_b32_f16 v1, v30, v89
	v_pack_b32_f16 v3, v46, v90
	ds_write2_b32 v194, v1, v3 offset1:77
	v_pack_b32_f16 v1, v110, v49
	v_pack_b32_f16 v3, v44, v31
	ds_write2_b32 v194, v1, v3 offset0:154 offset1:231
	v_pack_b32_f16 v1, v43, v91
	ds_write_b32 v194, v1 offset:1232
	v_pack_b32_f16 v1, v47, v92
	v_pack_b32_f16 v3, v51, v97
	v_add_f16_e32 v94, v94, v58
	ds_write2_b32 v195, v1, v3 offset1:77
	v_pack_b32_f16 v1, v111, v53
	v_pack_b32_f16 v3, v50, v52
	v_add_f16_e32 v94, v94, v59
	ds_write2_b32 v195, v1, v3 offset0:154 offset1:231
	v_pack_b32_f16 v1, v48, v93
	ds_write_b32 v195, v1 offset:1232
	v_pack_b32_f16 v1, v54, v94
	v_pack_b32_f16 v3, v95, v98
	v_add_u32_e32 v4, 0x1800, v196
	ds_write2_b32 v4, v1, v3 offset0:4 offset1:81
	v_pack_b32_f16 v1, v112, v56
	v_pack_b32_f16 v0, v0, v7
	ds_write2_b32 v4, v1, v0 offset0:158 offset1:235
	v_pack_b32_f16 v0, v55, v99
	ds_write_b32 v196, v0 offset:7392
	s_waitcnt lgkmcnt(0)
	; wave barrier
	s_waitcnt lgkmcnt(0)
	ds_read2_b32 v[3:4], v139 offset1:55
	ds_read2_b32 v[0:1], v14 offset0:74 offset1:129
	ds_read2_b32 v[5:6], v19 offset0:2 offset1:57
	ds_read2_b32 v[7:8], v16 offset0:76 offset1:131
	ds_read2_b32 v[9:10], v11 offset0:4 offset1:59
	ds_read2_b32 v[20:21], v14 offset0:184 offset1:239
	ds_read2_b32 v[22:23], v16 offset0:186 offset1:241
	s_waitcnt lgkmcnt(5)
	v_lshrrev_b32_e32 v44, 16, v1
	v_mul_f16_sdwa v108, v60, v44 dst_sel:DWORD dst_unused:UNUSED_PAD src0_sel:WORD_1 src1_sel:DWORD
	s_waitcnt lgkmcnt(4)
	v_lshrrev_b32_e32 v45, 16, v5
	v_fma_f16 v108, v60, v1, v108
	v_mul_f16_sdwa v1, v60, v1 dst_sel:DWORD dst_unused:UNUSED_PAD src0_sel:WORD_1 src1_sel:DWORD
	v_fma_f16 v1, v60, v44, -v1
	v_mul_f16_sdwa v44, v61, v45 dst_sel:DWORD dst_unused:UNUSED_PAD src0_sel:WORD_1 src1_sel:DWORD
	s_waitcnt lgkmcnt(3)
	v_lshrrev_b32_e32 v46, 16, v8
	v_fma_f16 v44, v61, v5, v44
	v_mul_f16_sdwa v5, v61, v5 dst_sel:DWORD dst_unused:UNUSED_PAD src0_sel:WORD_1 src1_sel:DWORD
	v_fma_f16 v5, v61, v45, -v5
	;; [unrolled: 6-line block ×3, first 2 shown]
	v_mul_f16_sdwa v46, v63, v47 dst_sel:DWORD dst_unused:UNUSED_PAD src0_sel:WORD_1 src1_sel:DWORD
	s_waitcnt lgkmcnt(1)
	v_lshrrev_b32_e32 v49, 16, v20
	v_fma_f16 v46, v63, v9, v46
	v_mul_f16_sdwa v9, v63, v9 dst_sel:DWORD dst_unused:UNUSED_PAD src0_sel:WORD_1 src1_sel:DWORD
	ds_read2_b32 v[30:31], v17 offset0:38 offset1:93
	v_fma_f16 v9, v63, v47, -v9
	v_mul_f16_sdwa v47, v64, v49 dst_sel:DWORD dst_unused:UNUSED_PAD src0_sel:WORD_1 src1_sel:DWORD
	v_lshrrev_b32_e32 v50, 16, v6
	ds_read2_b32 v[36:37], v12 offset0:94 offset1:149
	v_fma_f16 v47, v64, v20, v47
	v_mul_f16_sdwa v20, v64, v20 dst_sel:DWORD dst_unused:UNUSED_PAD src0_sel:WORD_1 src1_sel:DWORD
	ds_read2_b32 v[32:33], v18 offset0:40 offset1:95
	ds_read2_b32 v[38:39], v15 offset0:96 offset1:151
	;; [unrolled: 1-line block ×3, first 2 shown]
	v_fma_f16 v20, v64, v49, -v20
	v_mul_f16_sdwa v49, v65, v50 dst_sel:DWORD dst_unused:UNUSED_PAD src0_sel:WORD_1 src1_sel:DWORD
	s_waitcnt lgkmcnt(5)
	v_lshrrev_b32_e32 v51, 16, v22
	v_fma_f16 v49, v65, v6, v49
	v_mul_f16_sdwa v6, v65, v6 dst_sel:DWORD dst_unused:UNUSED_PAD src0_sel:WORD_1 src1_sel:DWORD
	ds_read2_b32 v[28:29], v11 offset0:114 offset1:169
	v_fma_f16 v6, v65, v50, -v6
	v_mul_f16_sdwa v50, v66, v51 dst_sel:DWORD dst_unused:UNUSED_PAD src0_sel:WORD_1 src1_sel:DWORD
	v_lshrrev_b32_e32 v52, 16, v10
	s_waitcnt lgkmcnt(5)
	v_lshrrev_b32_e32 v93, 16, v31
	v_fma_f16 v50, v66, v22, v50
	v_mul_f16_sdwa v22, v66, v22 dst_sel:DWORD dst_unused:UNUSED_PAD src0_sel:WORD_1 src1_sel:DWORD
	s_waitcnt lgkmcnt(4)
	v_lshrrev_b32_e32 v94, 16, v36
	ds_read2_b32 v[42:43], v18 offset0:150 offset1:205
	v_fma_f16 v22, v66, v51, -v22
	v_mul_f16_sdwa v51, v67, v52 dst_sel:DWORD dst_unused:UNUSED_PAD src0_sel:WORD_1 src1_sel:DWORD
	v_mul_f16_sdwa v62, v76, v93 dst_sel:DWORD dst_unused:UNUSED_PAD src0_sel:WORD_1 src1_sel:DWORD
	s_waitcnt lgkmcnt(4)
	v_lshrrev_b32_e32 v95, 16, v33
	s_waitcnt lgkmcnt(3)
	v_lshrrev_b32_e32 v96, 16, v38
	;; [unrolled: 2-line block ×3, first 2 shown]
	v_lshrrev_b32_e32 v99, 16, v37
	v_fma_f16 v51, v67, v10, v51
	v_mul_f16_sdwa v10, v67, v10 dst_sel:DWORD dst_unused:UNUSED_PAD src0_sel:WORD_1 src1_sel:DWORD
	v_fma_f16 v62, v76, v31, v62
	v_mul_f16_sdwa v31, v76, v31 dst_sel:DWORD dst_unused:UNUSED_PAD src0_sel:WORD_1 src1_sel:DWORD
	v_mul_f16_sdwa v63, v77, v94 dst_sel:DWORD dst_unused:UNUSED_PAD src0_sel:WORD_1 src1_sel:DWORD
	v_fma_f16 v10, v67, v52, -v10
	v_fma_f16 v31, v76, v93, -v31
	v_fma_f16 v63, v77, v36, v63
	v_mul_f16_sdwa v36, v77, v36 dst_sel:DWORD dst_unused:UNUSED_PAD src0_sel:WORD_1 src1_sel:DWORD
	v_mul_f16_sdwa v64, v78, v95 dst_sel:DWORD dst_unused:UNUSED_PAD src0_sel:WORD_1 src1_sel:DWORD
	;; [unrolled: 1-line block ×5, first 2 shown]
	v_add_f16_e32 v76, v44, v45
	v_lshrrev_b32_e32 v54, 16, v21
	s_waitcnt lgkmcnt(1)
	v_lshrrev_b32_e32 v91, 16, v29
	v_fma_f16 v36, v77, v94, -v36
	v_fma_f16 v64, v78, v33, v64
	v_mul_f16_sdwa v33, v78, v33 dst_sel:DWORD dst_unused:UNUSED_PAD src0_sel:WORD_1 src1_sel:DWORD
	v_fma_f16 v65, v79, v38, v65
	v_mul_f16_sdwa v38, v79, v38 dst_sel:DWORD dst_unused:UNUSED_PAD src0_sel:WORD_1 src1_sel:DWORD
	;; [unrolled: 2-line block ×4, first 2 shown]
	v_fma_f16 v76, v76, -0.5, v3
	v_sub_f16_e32 v77, v1, v9
	v_mul_f16_sdwa v52, v68, v54 dst_sel:DWORD dst_unused:UNUSED_PAD src0_sel:WORD_1 src1_sel:DWORD
	v_mul_f16_sdwa v61, v75, v91 dst_sel:DWORD dst_unused:UNUSED_PAD src0_sel:WORD_1 src1_sel:DWORD
	v_fma_f16 v33, v78, v95, -v33
	v_fma_f16 v38, v79, v96, -v38
	;; [unrolled: 1-line block ×4, first 2 shown]
	v_fma_f16 v78, v77, s1, v76
	v_sub_f16_e32 v79, v5, v8
	v_sub_f16_e32 v80, v108, v44
	;; [unrolled: 1-line block ×3, first 2 shown]
	v_fma_f16 v76, v77, s5, v76
	s_waitcnt lgkmcnt(0)
	v_lshrrev_b32_e32 v100, 16, v42
	v_fma_f16 v52, v68, v21, v52
	v_mul_f16_sdwa v21, v68, v21 dst_sel:DWORD dst_unused:UNUSED_PAD src0_sel:WORD_1 src1_sel:DWORD
	v_fma_f16 v61, v75, v29, v61
	v_mul_f16_sdwa v29, v75, v29 dst_sel:DWORD dst_unused:UNUSED_PAD src0_sel:WORD_1 src1_sel:DWORD
	v_fma_f16 v78, v79, s0, v78
	v_add_f16_e32 v80, v80, v81
	v_fma_f16 v76, v79, s6, v76
	v_fma_f16 v21, v68, v54, -v21
	v_fma_f16 v29, v75, v91, -v29
	v_mul_f16_sdwa v68, v82, v100 dst_sel:DWORD dst_unused:UNUSED_PAD src0_sel:WORD_1 src1_sel:DWORD
	v_add_f16_e32 v75, v3, v108
	v_fma_f16 v78, v80, s4, v78
	v_fma_f16 v76, v80, s4, v76
	v_add_f16_e32 v80, v108, v46
	v_lshrrev_b32_e32 v13, 16, v3
	v_fma_f16 v68, v82, v42, v68
	v_mul_f16_sdwa v42, v82, v42 dst_sel:DWORD dst_unused:UNUSED_PAD src0_sel:WORD_1 src1_sel:DWORD
	v_add_f16_e32 v75, v75, v44
	v_fma_f16 v3, v80, -0.5, v3
	v_fma_f16 v42, v82, v100, -v42
	v_add_f16_e32 v75, v75, v45
	v_fma_f16 v80, v79, s5, v3
	v_sub_f16_e32 v81, v44, v108
	v_sub_f16_e32 v82, v45, v46
	v_fma_f16 v3, v79, s1, v3
	v_add_f16_e32 v79, v5, v8
	v_add_f16_e32 v75, v75, v46
	v_fma_f16 v80, v77, s0, v80
	v_add_f16_e32 v81, v81, v82
	v_fma_f16 v3, v77, s6, v3
	v_fma_f16 v79, v79, -0.5, v13
	v_sub_f16_e32 v46, v108, v46
	v_fma_f16 v80, v81, s4, v80
	v_fma_f16 v3, v81, s4, v3
	;; [unrolled: 1-line block ×3, first 2 shown]
	v_sub_f16_e32 v44, v44, v45
	v_fma_f16 v45, v44, s6, v81
	v_sub_f16_e32 v81, v1, v5
	v_sub_f16_e32 v82, v9, v8
	v_fma_f16 v79, v46, s1, v79
	ds_read2_b32 v[26:27], v19 offset0:112 offset1:167
	v_add_f16_e32 v77, v13, v1
	v_add_f16_e32 v81, v81, v82
	v_fma_f16 v79, v44, s0, v79
	v_add_f16_e32 v77, v77, v5
	v_fma_f16 v45, v81, s4, v45
	v_fma_f16 v79, v81, s4, v79
	v_add_f16_e32 v81, v1, v9
	v_add_f16_e32 v77, v77, v8
	v_fma_f16 v13, v81, -0.5, v13
	v_add_f16_e32 v77, v77, v9
	v_fma_f16 v81, v44, s1, v13
	v_sub_f16_e32 v1, v5, v1
	v_sub_f16_e32 v5, v8, v9
	v_add_f16_e32 v9, v49, v50
	v_fma_f16 v81, v46, s6, v81
	v_add_f16_e32 v1, v1, v5
	v_fma_f16 v8, v44, s5, v13
	v_fma_f16 v9, v9, -0.5, v4
	v_sub_f16_e32 v13, v20, v10
	s_waitcnt lgkmcnt(0)
	v_lshrrev_b32_e32 v55, 16, v26
	v_fma_f16 v5, v1, s4, v81
	v_fma_f16 v8, v46, s0, v8
	;; [unrolled: 1-line block ×3, first 2 shown]
	v_sub_f16_e32 v46, v6, v22
	v_sub_f16_e32 v81, v47, v49
	;; [unrolled: 1-line block ×3, first 2 shown]
	v_fma_f16 v9, v13, s5, v9
	v_mul_f16_sdwa v54, v69, v55 dst_sel:DWORD dst_unused:UNUSED_PAD src0_sel:WORD_1 src1_sel:DWORD
	v_fma_f16 v44, v46, s0, v44
	v_add_f16_e32 v81, v81, v82
	v_fma_f16 v9, v46, s6, v9
	v_lshrrev_b32_e32 v101, 16, v39
	v_fma_f16 v54, v69, v26, v54
	v_mul_f16_sdwa v26, v69, v26 dst_sel:DWORD dst_unused:UNUSED_PAD src0_sel:WORD_1 src1_sel:DWORD
	v_fma_f16 v44, v81, s4, v44
	v_fma_f16 v9, v81, s4, v9
	v_add_f16_e32 v81, v47, v51
	v_lshrrev_b32_e32 v48, 16, v4
	v_fma_f16 v26, v69, v55, -v26
	v_mul_f16_sdwa v69, v83, v101 dst_sel:DWORD dst_unused:UNUSED_PAD src0_sel:WORD_1 src1_sel:DWORD
	v_fma_f16 v1, v1, s4, v8
	v_add_f16_e32 v8, v4, v47
	v_fma_f16 v4, v81, -0.5, v4
	v_fma_f16 v69, v83, v39, v69
	v_mul_f16_sdwa v39, v83, v39 dst_sel:DWORD dst_unused:UNUSED_PAD src0_sel:WORD_1 src1_sel:DWORD
	v_add_f16_e32 v8, v8, v49
	v_fma_f16 v81, v46, s5, v4
	v_fma_f16 v4, v46, s1, v4
	v_add_f16_e32 v46, v6, v22
	v_fma_f16 v39, v83, v101, -v39
	v_add_f16_e32 v8, v8, v50
	v_sub_f16_e32 v82, v49, v47
	v_sub_f16_e32 v83, v50, v51
	v_fma_f16 v46, v46, -0.5, v48
	v_sub_f16_e32 v47, v47, v51
	v_lshrrev_b32_e32 v56, 16, v23
	v_add_f16_e32 v8, v8, v51
	v_fma_f16 v81, v13, s0, v81
	v_add_f16_e32 v82, v82, v83
	v_fma_f16 v4, v13, s6, v4
	v_fma_f16 v51, v47, s5, v46
	v_sub_f16_e32 v49, v49, v50
	ds_read2_b32 v[24:25], v139 offset0:110 offset1:165
	v_mul_f16_sdwa v55, v70, v56 dst_sel:DWORD dst_unused:UNUSED_PAD src0_sel:WORD_1 src1_sel:DWORD
	v_fma_f16 v81, v82, s4, v81
	v_fma_f16 v4, v82, s4, v4
	;; [unrolled: 1-line block ×3, first 2 shown]
	v_sub_f16_e32 v51, v20, v6
	v_sub_f16_e32 v82, v10, v22
	v_fma_f16 v46, v47, s1, v46
	v_lshrrev_b32_e32 v57, 16, v28
	v_fma_f16 v55, v70, v23, v55
	v_mul_f16_sdwa v23, v70, v23 dst_sel:DWORD dst_unused:UNUSED_PAD src0_sel:WORD_1 src1_sel:DWORD
	v_add_f16_e32 v13, v48, v20
	v_add_f16_e32 v51, v51, v82
	v_fma_f16 v46, v49, s0, v46
	v_fma_f16 v23, v70, v56, -v23
	v_mul_f16_sdwa v56, v71, v57 dst_sel:DWORD dst_unused:UNUSED_PAD src0_sel:WORD_1 src1_sel:DWORD
	v_add_f16_e32 v13, v13, v6
	v_fma_f16 v50, v51, s4, v50
	v_fma_f16 v46, v51, s4, v46
	v_add_f16_e32 v51, v20, v10
	v_fma_f16 v56, v71, v28, v56
	v_mul_f16_sdwa v28, v71, v28 dst_sel:DWORD dst_unused:UNUSED_PAD src0_sel:WORD_1 src1_sel:DWORD
	v_add_f16_e32 v13, v13, v22
	v_fma_f16 v48, v51, -0.5, v48
	v_fma_f16 v28, v71, v57, -v28
	v_add_f16_e32 v13, v13, v10
	v_fma_f16 v51, v49, s1, v48
	v_sub_f16_e32 v6, v6, v20
	v_sub_f16_e32 v10, v22, v10
	v_fma_f16 v20, v49, s5, v48
	v_add_f16_e32 v22, v54, v55
	v_fma_f16 v51, v47, s6, v51
	v_add_f16_e32 v6, v6, v10
	v_fma_f16 v20, v47, s0, v20
	s_waitcnt lgkmcnt(0)
	v_fma_f16 v22, v22, -0.5, v24
	v_sub_f16_e32 v47, v21, v28
	v_fma_f16 v10, v6, s4, v51
	v_fma_f16 v48, v47, s1, v22
	v_sub_f16_e32 v49, v26, v23
	v_sub_f16_e32 v51, v52, v54
	;; [unrolled: 1-line block ×3, first 2 shown]
	v_fma_f16 v22, v47, s5, v22
	v_fma_f16 v48, v49, s0, v48
	v_add_f16_e32 v51, v51, v82
	v_fma_f16 v22, v49, s6, v22
	v_fma_f16 v48, v51, s4, v48
	;; [unrolled: 1-line block ×3, first 2 shown]
	v_add_f16_e32 v51, v52, v56
	v_lshrrev_b32_e32 v53, 16, v24
	v_fma_f16 v6, v6, s4, v20
	v_add_f16_e32 v20, v24, v52
	v_fma_f16 v24, v51, -0.5, v24
	v_add_f16_e32 v20, v20, v54
	v_fma_f16 v51, v49, s5, v24
	v_fma_f16 v24, v49, s1, v24
	v_add_f16_e32 v49, v26, v23
	v_add_f16_e32 v20, v20, v55
	v_sub_f16_e32 v82, v54, v52
	v_sub_f16_e32 v83, v55, v56
	v_fma_f16 v49, v49, -0.5, v53
	v_sub_f16_e32 v52, v52, v56
	v_lshrrev_b32_e32 v59, 16, v30
	v_add_f16_e32 v20, v20, v56
	v_fma_f16 v51, v47, s0, v51
	v_add_f16_e32 v82, v82, v83
	v_fma_f16 v24, v47, s6, v24
	v_fma_f16 v56, v52, s5, v49
	v_sub_f16_e32 v54, v54, v55
	v_mul_f16_sdwa v57, v72, v59 dst_sel:DWORD dst_unused:UNUSED_PAD src0_sel:WORD_1 src1_sel:DWORD
	v_fma_f16 v51, v82, s4, v51
	v_fma_f16 v24, v82, s4, v24
	;; [unrolled: 1-line block ×3, first 2 shown]
	v_sub_f16_e32 v56, v21, v26
	v_sub_f16_e32 v82, v28, v23
	v_fma_f16 v49, v52, s1, v49
	v_lshrrev_b32_e32 v89, 16, v27
	v_lshrrev_b32_e32 v90, 16, v32
	v_fma_f16 v57, v72, v30, v57
	v_mul_f16_sdwa v30, v72, v30 dst_sel:DWORD dst_unused:UNUSED_PAD src0_sel:WORD_1 src1_sel:DWORD
	v_add_f16_e32 v47, v53, v21
	v_add_f16_e32 v56, v56, v82
	v_fma_f16 v49, v54, s0, v49
	v_fma_f16 v30, v72, v59, -v30
	v_mul_f16_sdwa v59, v73, v89 dst_sel:DWORD dst_unused:UNUSED_PAD src0_sel:WORD_1 src1_sel:DWORD
	v_mul_f16_sdwa v60, v74, v90 dst_sel:DWORD dst_unused:UNUSED_PAD src0_sel:WORD_1 src1_sel:DWORD
	v_add_f16_e32 v47, v47, v26
	v_fma_f16 v55, v56, s4, v55
	v_fma_f16 v49, v56, s4, v49
	v_add_f16_e32 v56, v21, v28
	v_fma_f16 v59, v73, v27, v59
	v_fma_f16 v60, v74, v32, v60
	v_add_f16_e32 v47, v47, v23
	v_fma_f16 v53, v56, -0.5, v53
	v_mul_f16_sdwa v27, v73, v27 dst_sel:DWORD dst_unused:UNUSED_PAD src0_sel:WORD_1 src1_sel:DWORD
	v_mul_f16_sdwa v32, v74, v32 dst_sel:DWORD dst_unused:UNUSED_PAD src0_sel:WORD_1 src1_sel:DWORD
	v_add_f16_e32 v47, v47, v28
	v_fma_f16 v56, v54, s1, v53
	v_sub_f16_e32 v21, v26, v21
	v_sub_f16_e32 v23, v23, v28
	v_fma_f16 v26, v54, s5, v53
	v_add_f16_e32 v28, v59, v60
	v_fma_f16 v27, v73, v89, -v27
	v_fma_f16 v32, v74, v90, -v32
	v_fma_f16 v56, v52, s6, v56
	v_add_f16_e32 v21, v21, v23
	v_fma_f16 v26, v52, s0, v26
	v_fma_f16 v28, v28, -0.5, v25
	v_sub_f16_e32 v52, v30, v29
	v_fma_f16 v23, v21, s4, v56
	v_fma_f16 v53, v52, s1, v28
	v_sub_f16_e32 v54, v27, v32
	v_sub_f16_e32 v56, v57, v59
	;; [unrolled: 1-line block ×3, first 2 shown]
	v_fma_f16 v28, v52, s5, v28
	v_fma_f16 v53, v54, s0, v53
	v_add_f16_e32 v56, v56, v82
	v_fma_f16 v28, v54, s6, v28
	v_fma_f16 v53, v56, s4, v53
	;; [unrolled: 1-line block ×3, first 2 shown]
	v_add_f16_e32 v56, v57, v61
	v_lshrrev_b32_e32 v58, 16, v25
	v_fma_f16 v21, v21, s4, v26
	v_add_f16_e32 v26, v25, v57
	v_fma_f16 v25, v56, -0.5, v25
	v_add_f16_e32 v26, v26, v59
	v_fma_f16 v56, v54, s5, v25
	v_fma_f16 v25, v54, s1, v25
	v_add_f16_e32 v54, v27, v32
	v_add_f16_e32 v26, v26, v60
	v_sub_f16_e32 v82, v59, v57
	v_sub_f16_e32 v83, v60, v61
	v_fma_f16 v54, v54, -0.5, v58
	v_sub_f16_e32 v57, v57, v61
	v_add_f16_e32 v26, v26, v61
	v_fma_f16 v56, v52, s0, v56
	v_add_f16_e32 v82, v82, v83
	v_fma_f16 v25, v52, s6, v25
	v_fma_f16 v61, v57, s5, v54
	v_sub_f16_e32 v59, v59, v60
	ds_read2_b32 v[34:35], v2 offset0:92 offset1:147
	v_fma_f16 v56, v82, s4, v56
	v_fma_f16 v25, v82, s4, v25
	v_fma_f16 v60, v59, s6, v61
	v_sub_f16_e32 v61, v30, v27
	v_sub_f16_e32 v82, v29, v32
	v_fma_f16 v54, v57, s1, v54
	v_add_f16_e32 v52, v58, v30
	v_add_f16_e32 v61, v61, v82
	v_fma_f16 v54, v59, s0, v54
	v_add_f16_e32 v52, v52, v27
	v_fma_f16 v60, v61, s4, v60
	v_fma_f16 v54, v61, s4, v54
	v_add_f16_e32 v61, v30, v29
	v_add_f16_e32 v52, v52, v32
	v_fma_f16 v58, v61, -0.5, v58
	v_add_f16_e32 v52, v52, v29
	v_fma_f16 v61, v59, s1, v58
	v_sub_f16_e32 v27, v27, v30
	v_sub_f16_e32 v29, v32, v29
	v_fma_f16 v30, v59, s5, v58
	v_add_f16_e32 v32, v63, v64
	v_fma_f16 v61, v57, s6, v61
	v_add_f16_e32 v27, v27, v29
	v_fma_f16 v30, v57, s0, v30
	s_waitcnt lgkmcnt(0)
	v_fma_f16 v32, v32, -0.5, v34
	v_sub_f16_e32 v57, v31, v38
	v_fma_f16 v29, v27, s4, v61
	v_fma_f16 v58, v57, s1, v32
	v_sub_f16_e32 v59, v36, v33
	v_sub_f16_e32 v61, v62, v63
	;; [unrolled: 1-line block ×3, first 2 shown]
	v_fma_f16 v32, v57, s5, v32
	v_fma_f16 v58, v59, s0, v58
	v_add_f16_e32 v61, v61, v82
	v_fma_f16 v32, v59, s6, v32
	v_fma_f16 v58, v61, s4, v58
	;; [unrolled: 1-line block ×3, first 2 shown]
	v_add_f16_e32 v61, v62, v65
	v_lshrrev_b32_e32 v92, 16, v34
	v_fma_f16 v27, v27, s4, v30
	v_add_f16_e32 v30, v34, v62
	v_fma_f16 v34, v61, -0.5, v34
	v_add_f16_e32 v30, v30, v63
	v_fma_f16 v61, v59, s5, v34
	v_fma_f16 v34, v59, s1, v34
	v_add_f16_e32 v59, v36, v33
	v_add_f16_e32 v30, v30, v64
	v_sub_f16_e32 v82, v63, v62
	v_sub_f16_e32 v83, v64, v65
	v_fma_f16 v59, v59, -0.5, v92
	v_sub_f16_e32 v62, v62, v65
	v_add_f16_e32 v30, v30, v65
	v_fma_f16 v61, v57, s0, v61
	v_add_f16_e32 v82, v82, v83
	v_fma_f16 v34, v57, s6, v34
	v_fma_f16 v65, v62, s5, v59
	v_sub_f16_e32 v63, v63, v64
	v_fma_f16 v61, v82, s4, v61
	v_fma_f16 v34, v82, s4, v34
	v_fma_f16 v64, v63, s6, v65
	v_sub_f16_e32 v65, v31, v36
	v_sub_f16_e32 v82, v38, v33
	v_fma_f16 v59, v62, s1, v59
	v_add_f16_e32 v57, v92, v31
	v_add_f16_e32 v65, v65, v82
	v_fma_f16 v59, v63, s0, v59
	v_add_f16_e32 v57, v57, v36
	v_fma_f16 v64, v65, s4, v64
	v_fma_f16 v59, v65, s4, v59
	v_add_f16_e32 v65, v31, v38
	v_add_f16_e32 v57, v57, v33
	v_fma_f16 v65, v65, -0.5, v92
	v_add_f16_e32 v57, v57, v38
	v_fma_f16 v82, v63, s1, v65
	v_sub_f16_e32 v31, v36, v31
	v_sub_f16_e32 v33, v33, v38
	v_fma_f16 v36, v63, s5, v65
	v_add_f16_e32 v38, v67, v68
	v_fma_f16 v82, v62, s6, v82
	v_add_f16_e32 v31, v31, v33
	v_fma_f16 v36, v62, s0, v36
	v_fma_f16 v38, v38, -0.5, v35
	v_sub_f16_e32 v62, v40, v39
	v_fma_f16 v33, v31, s4, v82
	v_fma_f16 v63, v62, s1, v38
	v_sub_f16_e32 v65, v37, v42
	v_sub_f16_e32 v82, v66, v67
	;; [unrolled: 1-line block ×3, first 2 shown]
	v_fma_f16 v38, v62, s5, v38
	v_fma_f16 v63, v65, s0, v63
	v_add_f16_e32 v82, v82, v83
	v_fma_f16 v38, v65, s6, v38
	v_lshrrev_b32_e32 v104, 16, v41
	v_fma_f16 v63, v82, s4, v63
	v_fma_f16 v38, v82, s4, v38
	v_add_f16_e32 v82, v66, v69
	v_lshrrev_b32_e32 v97, 16, v35
	v_mul_f16_sdwa v70, v84, v104 dst_sel:DWORD dst_unused:UNUSED_PAD src0_sel:WORD_1 src1_sel:DWORD
	v_fma_f16 v31, v31, s4, v36
	v_add_f16_e32 v36, v35, v66
	v_fma_f16 v35, v82, -0.5, v35
	v_fma_f16 v70, v84, v41, v70
	v_mul_f16_sdwa v41, v84, v41 dst_sel:DWORD dst_unused:UNUSED_PAD src0_sel:WORD_1 src1_sel:DWORD
	v_add_f16_e32 v36, v36, v67
	v_fma_f16 v82, v65, s5, v35
	v_fma_f16 v35, v65, s1, v35
	v_add_f16_e32 v65, v37, v42
	ds_read_b32 v102, v139 offset:7480
	v_fma_f16 v41, v84, v104, -v41
	v_add_f16_e32 v36, v36, v68
	v_sub_f16_e32 v83, v67, v66
	v_sub_f16_e32 v84, v68, v69
	v_fma_f16 v65, v65, -0.5, v97
	v_sub_f16_e32 v66, v66, v69
	v_add_f16_e32 v36, v36, v69
	v_fma_f16 v82, v62, s0, v82
	v_add_f16_e32 v83, v83, v84
	v_fma_f16 v35, v62, s6, v35
	v_fma_f16 v69, v66, s5, v65
	v_sub_f16_e32 v67, v67, v68
	v_fma_f16 v82, v83, s4, v82
	v_fma_f16 v35, v83, s4, v35
	;; [unrolled: 1-line block ×3, first 2 shown]
	v_sub_f16_e32 v69, v40, v37
	v_sub_f16_e32 v83, v39, v42
	v_fma_f16 v65, v66, s1, v65
	v_lshrrev_b32_e32 v105, 16, v7
	v_lshrrev_b32_e32 v106, 16, v43
	v_add_f16_e32 v62, v97, v40
	v_add_f16_e32 v69, v69, v83
	v_fma_f16 v65, v67, s0, v65
	v_mul_f16_sdwa v71, v85, v105 dst_sel:DWORD dst_unused:UNUSED_PAD src0_sel:WORD_1 src1_sel:DWORD
	v_mul_f16_sdwa v72, v86, v106 dst_sel:DWORD dst_unused:UNUSED_PAD src0_sel:WORD_1 src1_sel:DWORD
	v_add_f16_e32 v62, v62, v37
	v_fma_f16 v68, v69, s4, v68
	v_fma_f16 v65, v69, s4, v65
	v_add_f16_e32 v69, v40, v39
	s_waitcnt lgkmcnt(0)
	v_lshrrev_b32_e32 v107, 16, v102
	v_fma_f16 v71, v85, v7, v71
	v_fma_f16 v72, v86, v43, v72
	v_mul_f16_sdwa v74, v87, v102 dst_sel:DWORD dst_unused:UNUSED_PAD src0_sel:WORD_1 src1_sel:DWORD
	v_add_f16_e32 v62, v62, v42
	v_fma_f16 v69, v69, -0.5, v97
	v_mul_f16_sdwa v7, v85, v7 dst_sel:DWORD dst_unused:UNUSED_PAD src0_sel:WORD_1 src1_sel:DWORD
	v_mul_f16_sdwa v43, v86, v43 dst_sel:DWORD dst_unused:UNUSED_PAD src0_sel:WORD_1 src1_sel:DWORD
	;; [unrolled: 1-line block ×3, first 2 shown]
	v_fma_f16 v74, v87, v107, -v74
	v_add_f16_e32 v62, v62, v39
	v_fma_f16 v83, v67, s1, v69
	v_sub_f16_e32 v37, v37, v40
	v_sub_f16_e32 v39, v42, v39
	v_fma_f16 v40, v67, s5, v69
	v_add_f16_e32 v42, v71, v72
	v_fma_f16 v7, v85, v105, -v7
	v_fma_f16 v43, v86, v106, -v43
	v_fma_f16 v73, v87, v102, v73
	v_fma_f16 v83, v66, s6, v83
	v_add_f16_e32 v37, v37, v39
	v_fma_f16 v40, v66, s0, v40
	v_fma_f16 v42, v42, -0.5, v0
	v_sub_f16_e32 v66, v41, v74
	v_fma_f16 v39, v37, s4, v83
	v_fma_f16 v67, v66, s1, v42
	v_sub_f16_e32 v69, v7, v43
	v_sub_f16_e32 v83, v70, v71
	;; [unrolled: 1-line block ×3, first 2 shown]
	v_fma_f16 v42, v66, s5, v42
	v_fma_f16 v67, v69, s0, v67
	v_add_f16_e32 v83, v83, v84
	v_fma_f16 v42, v69, s6, v42
	v_fma_f16 v67, v83, s4, v67
	;; [unrolled: 1-line block ×3, first 2 shown]
	v_add_f16_e32 v83, v70, v73
	v_lshrrev_b32_e32 v103, 16, v0
	v_fma_f16 v37, v37, s4, v40
	v_add_f16_e32 v40, v0, v70
	v_fma_f16 v0, v83, -0.5, v0
	v_add_f16_e32 v40, v40, v71
	v_fma_f16 v83, v69, s5, v0
	v_fma_f16 v0, v69, s1, v0
	v_add_f16_e32 v69, v7, v43
	v_add_f16_e32 v40, v40, v72
	v_sub_f16_e32 v84, v71, v70
	v_sub_f16_e32 v85, v72, v73
	v_fma_f16 v69, v69, -0.5, v103
	v_sub_f16_e32 v70, v70, v73
	v_add_f16_e32 v40, v40, v73
	v_fma_f16 v83, v66, s0, v83
	v_add_f16_e32 v84, v84, v85
	v_fma_f16 v0, v66, s6, v0
	v_fma_f16 v73, v70, s5, v69
	v_sub_f16_e32 v71, v71, v72
	v_fma_f16 v83, v84, s4, v83
	v_fma_f16 v0, v84, s4, v0
	;; [unrolled: 1-line block ×3, first 2 shown]
	v_sub_f16_e32 v73, v41, v7
	v_sub_f16_e32 v84, v74, v43
	v_fma_f16 v69, v70, s1, v69
	v_add_f16_e32 v73, v73, v84
	v_fma_f16 v69, v71, s0, v69
	v_add_f16_e32 v66, v103, v41
	v_fma_f16 v72, v73, s4, v72
	v_fma_f16 v69, v73, s4, v69
	v_add_f16_e32 v73, v41, v74
	v_add_f16_e32 v66, v66, v7
	v_fma_f16 v73, v73, -0.5, v103
	v_add_f16_e32 v66, v66, v43
	v_fma_f16 v84, v71, s1, v73
	v_sub_f16_e32 v7, v7, v41
	v_sub_f16_e32 v41, v43, v74
	v_fma_f16 v43, v71, s5, v73
	v_pack_b32_f16 v1, v3, v1
	v_fma_f16 v84, v70, s6, v84
	v_add_f16_e32 v7, v7, v41
	v_fma_f16 v43, v70, s0, v43
	ds_write_b32 v139, v1 offset:4620
	v_pack_b32_f16 v1, v76, v79
	v_fma_f16 v41, v7, s4, v84
	v_fma_f16 v7, v7, s4, v43
	v_pack_b32_f16 v43, v75, v77
	v_pack_b32_f16 v45, v78, v45
	;; [unrolled: 1-line block ×3, first 2 shown]
	ds_write_b32 v139, v1 offset:6160
	v_pack_b32_f16 v1, v8, v13
	ds_write_b32 v139, v45 offset:1540
	ds_write_b32 v139, v5 offset:3080
	ds_write2_b32 v139, v43, v1 offset1:55
	v_pack_b32_f16 v1, v44, v50
	v_pack_b32_f16 v8, v48, v55
	;; [unrolled: 1-line block ×3, first 2 shown]
	ds_write2_b32 v14, v1, v8 offset0:184 offset1:239
	v_pack_b32_f16 v1, v51, v23
	v_pack_b32_f16 v4, v4, v6
	ds_write2_b32 v19, v3, v1 offset0:57 offset1:112
	v_pack_b32_f16 v1, v24, v21
	v_pack_b32_f16 v5, v9, v46
	;; [unrolled: 3-line block ×4, first 2 shown]
	ds_write2_b32 v139, v6, v1 offset0:110 offset1:165
	ds_write_b32 v139, v3 offset:3740
	v_pack_b32_f16 v3, v25, v27
	v_pack_b32_f16 v1, v53, v60
	ds_write_b32 v139, v3 offset:5280
	v_pack_b32_f16 v3, v28, v54
	v_pack_b32_f16 v4, v58, v64
	ds_write_b32 v139, v3 offset:6820
	ds_write2_b32 v17, v1, v4 offset0:38 offset1:93
	v_pack_b32_f16 v4, v34, v31
	ds_write_b32 v139, v4 offset:5500
	v_pack_b32_f16 v4, v32, v59
	v_pack_b32_f16 v3, v30, v57
	ds_write_b32 v139, v4 offset:7040
	v_pack_b32_f16 v4, v36, v62
	v_pack_b32_f16 v1, v61, v33
	ds_write2_b32 v2, v3, v4 offset0:92 offset1:147
	v_pack_b32_f16 v4, v82, v39
	ds_write2_b32 v12, v1, v4 offset0:94 offset1:149
	v_pack_b32_f16 v1, v35, v37
	v_add_f16_e32 v66, v66, v74
	ds_write_b32 v139, v1 offset:5720
	v_pack_b32_f16 v1, v38, v65
	ds_write_b32 v139, v1 offset:7260
	v_pack_b32_f16 v1, v40, v66
	v_pack_b32_f16 v3, v63, v68
	ds_write_b32 v139, v1 offset:1320
	v_pack_b32_f16 v1, v67, v72
	v_pack_b32_f16 v0, v0, v7
	ds_write2_b32 v17, v3, v1 offset0:148 offset1:203
	v_pack_b32_f16 v1, v83, v41
	ds_write_b32 v139, v0 offset:5940
	v_pack_b32_f16 v0, v42, v69
	ds_write_b32 v139, v1 offset:4400
	ds_write_b32 v139, v0 offset:7480
	s_waitcnt lgkmcnt(0)
	; wave barrier
	s_waitcnt lgkmcnt(0)
	ds_read2_b32 v[3:4], v139 offset1:55
	s_mov_b32 s4, 0xebc93598
	s_mov_b32 s5, 0x3f4105b7
	v_mad_u64_u32 v[5:6], s[0:1], s10, v88, 0
	s_waitcnt lgkmcnt(0)
	v_lshrrev_b32_e32 v8, 16, v3
	v_mul_f16_sdwa v0, v175, v8 dst_sel:DWORD dst_unused:UNUSED_PAD src0_sel:WORD_1 src1_sel:DWORD
	v_fma_f16 v0, v175, v3, v0
	v_cvt_f32_f16_e32 v0, v0
	s_movk_i32 s6, 0x1ff
	v_mad_u64_u32 v[6:7], s[0:1], s11, v88, v[6:7]
	v_cvt_f64_f32_e32 v[0:1], v0
	s_movk_i32 s7, 0xffe
	v_mul_f16_sdwa v3, v175, v3 dst_sel:DWORD dst_unused:UNUSED_PAD src0_sel:WORD_1 src1_sel:DWORD
	v_fma_f16 v3, v175, v8, -v3
	v_mul_f64 v[0:1], v[0:1], s[4:5]
	v_cvt_f32_f16_e32 v3, v3
	s_movk_i32 s10, 0x40f
	s_mov_b32 s11, 0x8000
	v_lshlrev_b64 v[5:6], 2, v[5:6]
	v_and_or_b32 v0, v1, s6, v0
	v_cmp_ne_u32_e32 vcc, 0, v0
	v_cndmask_b32_e64 v0, 0, 1, vcc
	v_lshrrev_b32_e32 v7, 8, v1
	v_bfe_u32 v9, v1, 20, 11
	v_and_or_b32 v0, v7, s7, v0
	v_sub_u32_e32 v10, 0x3f1, v9
	v_or_b32_e32 v7, 0x1000, v0
	v_med3_i32 v10, v10, 0, 13
	v_lshrrev_b32_e32 v13, v10, v7
	v_lshlrev_b32_e32 v10, v10, v13
	v_cmp_ne_u32_e32 vcc, v10, v7
	v_cndmask_b32_e64 v7, 0, 1, vcc
	v_add_u32_e32 v9, 0xfffffc10, v9
	v_or_b32_e32 v7, v13, v7
	v_lshl_or_b32 v10, v9, 12, v0
	v_cmp_gt_i32_e32 vcc, 1, v9
	v_cndmask_b32_e32 v7, v10, v7, vcc
	v_and_b32_e32 v10, 7, v7
	v_cmp_lt_i32_e32 vcc, 5, v10
	v_cmp_eq_u32_e64 s[0:1], 3, v10
	v_lshrrev_b32_e32 v7, 2, v7
	s_or_b64 vcc, s[0:1], vcc
	v_addc_co_u32_e32 v10, vcc, 0, v7, vcc
	v_cvt_f64_f32_e32 v[7:8], v3
	v_mov_b32_e32 v13, 0x7c00
	v_cmp_gt_i32_e32 vcc, 31, v9
	v_cndmask_b32_e32 v3, v13, v10, vcc
	v_mul_f64 v[7:8], v[7:8], s[4:5]
	v_cmp_ne_u32_e32 vcc, 0, v0
	v_cndmask_b32_e64 v0, 0, 1, vcc
	v_lshl_or_b32 v0, v0, 9, v13
	v_cmp_eq_u32_e32 vcc, s10, v9
	v_cndmask_b32_e32 v0, v3, v0, vcc
	v_lshrrev_b32_e32 v1, 16, v1
	v_and_or_b32 v20, v1, s11, v0
	v_and_or_b32 v0, v8, s6, v7
	v_cmp_ne_u32_e32 vcc, 0, v0
	v_cndmask_b32_e64 v0, 0, 1, vcc
	v_lshrrev_b32_e32 v1, 8, v8
	v_bfe_u32 v3, v8, 20, 11
	v_and_or_b32 v0, v1, s7, v0
	v_sub_u32_e32 v7, 0x3f1, v3
	v_or_b32_e32 v1, 0x1000, v0
	v_med3_i32 v7, v7, 0, 13
	v_lshrrev_b32_e32 v9, v7, v1
	v_lshlrev_b32_e32 v7, v7, v9
	v_cmp_ne_u32_e32 vcc, v7, v1
	v_cndmask_b32_e64 v1, 0, 1, vcc
	v_add_u32_e32 v3, 0xfffffc10, v3
	v_or_b32_e32 v1, v9, v1
	v_lshl_or_b32 v7, v3, 12, v0
	v_cmp_gt_i32_e32 vcc, 1, v3
	v_cndmask_b32_e32 v1, v7, v1, vcc
	v_and_b32_e32 v7, 7, v1
	v_cmp_lt_i32_e32 vcc, 5, v7
	v_cmp_eq_u32_e64 s[0:1], 3, v7
	v_lshrrev_b32_e32 v1, 2, v1
	s_or_b64 vcc, s[0:1], vcc
	v_addc_co_u32_e32 v1, vcc, 0, v1, vcc
	v_cmp_gt_i32_e32 vcc, 31, v3
	v_cndmask_b32_e32 v1, v13, v1, vcc
	v_cmp_ne_u32_e32 vcc, 0, v0
	v_cndmask_b32_e64 v0, 0, 1, vcc
	v_lshl_or_b32 v0, v0, 9, v13
	v_cmp_eq_u32_e32 vcc, s10, v3
	v_mad_u64_u32 v[9:10], s[0:1], s8, v174, 0
	v_cndmask_b32_e32 v7, v1, v0, vcc
	ds_read2_b32 v[0:1], v2 offset0:92 offset1:147
	v_mov_b32_e32 v2, v10
	v_mad_u64_u32 v[2:3], s[0:1], s9, v174, v[2:3]
	v_lshrrev_b32_e32 v8, 16, v8
	s_waitcnt lgkmcnt(0)
	v_lshrrev_b32_e32 v21, 16, v1
	v_mul_f16_sdwa v3, v173, v21 dst_sel:DWORD dst_unused:UNUSED_PAD src0_sel:WORD_1 src1_sel:DWORD
	v_fma_f16 v3, v173, v1, v3
	v_cvt_f32_f16_e32 v3, v3
	v_mov_b32_e32 v10, v2
	v_and_or_b32 v7, v8, s11, v7
	v_and_b32_e32 v8, 0xffff, v20
	v_cvt_f64_f32_e32 v[2:3], v3
	v_lshl_or_b32 v20, v7, 16, v8
	v_mov_b32_e32 v7, s3
	v_add_co_u32_e32 v8, vcc, s2, v5
	v_mul_f64 v[2:3], v[2:3], s[4:5]
	v_addc_co_u32_e32 v22, vcc, v7, v6, vcc
	v_lshlrev_b64 v[5:6], 2, v[9:10]
	v_mul_f16_sdwa v1, v173, v1 dst_sel:DWORD dst_unused:UNUSED_PAD src0_sel:WORD_1 src1_sel:DWORD
	v_add_co_u32_e32 v7, vcc, v8, v5
	v_addc_co_u32_e32 v8, vcc, v22, v6, vcc
	v_and_or_b32 v2, v3, s6, v2
	v_cmp_ne_u32_e32 vcc, 0, v2
	v_cndmask_b32_e64 v2, 0, 1, vcc
	v_lshrrev_b32_e32 v5, 8, v3
	v_bfe_u32 v6, v3, 20, 11
	v_and_or_b32 v5, v5, s7, v2
	v_sub_u32_e32 v9, 0x3f1, v6
	v_or_b32_e32 v2, 0x1000, v5
	v_med3_i32 v9, v9, 0, 13
	v_lshrrev_b32_e32 v10, v9, v2
	v_lshlrev_b32_e32 v9, v9, v10
	v_cmp_ne_u32_e32 vcc, v9, v2
	v_fma_f16 v1, v173, v21, -v1
	v_cndmask_b32_e64 v2, 0, 1, vcc
	v_add_u32_e32 v6, 0xfffffc10, v6
	v_cvt_f32_f16_e32 v1, v1
	v_or_b32_e32 v2, v10, v2
	v_lshl_or_b32 v9, v6, 12, v5
	v_cmp_gt_i32_e32 vcc, 1, v6
	v_cndmask_b32_e32 v2, v9, v2, vcc
	v_and_b32_e32 v9, 7, v2
	v_cmp_lt_i32_e32 vcc, 5, v9
	v_cmp_eq_u32_e64 s[0:1], 3, v9
	v_lshrrev_b32_e32 v9, 2, v2
	v_cvt_f64_f32_e32 v[1:2], v1
	s_or_b64 vcc, s[0:1], vcc
	v_addc_co_u32_e32 v9, vcc, 0, v9, vcc
	v_mul_f64 v[1:2], v[1:2], s[4:5]
	v_cmp_gt_i32_e32 vcc, 31, v6
	v_cndmask_b32_e32 v9, v13, v9, vcc
	v_cmp_ne_u32_e32 vcc, 0, v5
	v_cndmask_b32_e64 v5, 0, 1, vcc
	v_lshl_or_b32 v5, v5, 9, v13
	v_cmp_eq_u32_e32 vcc, s10, v6
	v_cndmask_b32_e32 v5, v9, v5, vcc
	v_and_or_b32 v1, v2, s6, v1
	v_lshrrev_b32_e32 v3, 16, v3
	v_cmp_ne_u32_e32 vcc, 0, v1
	v_and_or_b32 v3, v3, s11, v5
	v_cndmask_b32_e64 v1, 0, 1, vcc
	v_lshrrev_b32_e32 v5, 8, v2
	v_bfe_u32 v6, v2, 20, 11
	v_and_or_b32 v1, v5, s7, v1
	v_sub_u32_e32 v9, 0x3f1, v6
	v_or_b32_e32 v5, 0x1000, v1
	v_med3_i32 v9, v9, 0, 13
	v_lshrrev_b32_e32 v10, v9, v5
	v_lshlrev_b32_e32 v9, v9, v10
	v_cmp_ne_u32_e32 vcc, v9, v5
	v_cndmask_b32_e64 v5, 0, 1, vcc
	v_add_u32_e32 v9, 0xfffffc10, v6
	v_or_b32_e32 v5, v10, v5
	v_lshl_or_b32 v6, v9, 12, v1
	v_cmp_gt_i32_e32 vcc, 1, v9
	v_cndmask_b32_e32 v5, v6, v5, vcc
	v_and_b32_e32 v6, 7, v5
	v_cmp_lt_i32_e32 vcc, 5, v6
	v_cmp_eq_u32_e64 s[0:1], 3, v6
	v_lshrrev_b32_e32 v5, 2, v5
	s_or_b64 vcc, s[0:1], vcc
	v_addc_co_u32_e32 v5, vcc, 0, v5, vcc
	v_cmp_gt_i32_e32 vcc, 31, v9
	v_cndmask_b32_e32 v10, v13, v5, vcc
	ds_read2_b32 v[5:6], v17 offset0:38 offset1:93
	v_cmp_ne_u32_e32 vcc, 0, v1
	v_cndmask_b32_e64 v1, 0, 1, vcc
	v_lshl_or_b32 v1, v1, 9, v13
	v_cmp_eq_u32_e32 vcc, s10, v9
	s_waitcnt lgkmcnt(0)
	v_lshrrev_b32_e32 v9, 16, v5
	v_cndmask_b32_e32 v1, v10, v1, vcc
	v_mul_f16_sdwa v10, v172, v9 dst_sel:DWORD dst_unused:UNUSED_PAD src0_sel:WORD_1 src1_sel:DWORD
	v_fma_f16 v10, v172, v5, v10
	v_cvt_f32_f16_e32 v10, v10
	v_lshrrev_b32_e32 v2, 16, v2
	v_and_or_b32 v1, v2, s11, v1
	v_and_b32_e32 v2, 0xffff, v3
	v_lshl_or_b32 v3, v1, 16, v2
	v_cvt_f64_f32_e32 v[1:2], v10
	s_mul_i32 s0, s9, 0x44c
	s_mul_hi_u32 s2, s8, 0x44c
	s_add_i32 s2, s2, s0
	v_mul_f64 v[1:2], v[1:2], s[4:5]
	s_mul_i32 s3, s8, 0x44c
	global_store_dword v[7:8], v20, off
	v_mov_b32_e32 v10, s2
	v_add_co_u32_e32 v7, vcc, s3, v7
	v_addc_co_u32_e32 v8, vcc, v8, v10, vcc
	v_and_or_b32 v1, v2, s6, v1
	v_cmp_ne_u32_e32 vcc, 0, v1
	global_store_dword v[7:8], v3, off
	v_cndmask_b32_e64 v1, 0, 1, vcc
	v_lshrrev_b32_e32 v3, 8, v2
	v_bfe_u32 v10, v2, 20, 11
	v_and_or_b32 v1, v3, s7, v1
	v_sub_u32_e32 v20, 0x3f1, v10
	v_or_b32_e32 v3, 0x1000, v1
	v_med3_i32 v20, v20, 0, 13
	v_lshrrev_b32_e32 v21, v20, v3
	v_lshlrev_b32_e32 v20, v20, v21
	v_mul_f16_sdwa v5, v172, v5 dst_sel:DWORD dst_unused:UNUSED_PAD src0_sel:WORD_1 src1_sel:DWORD
	v_cmp_ne_u32_e32 vcc, v20, v3
	v_fma_f16 v5, v172, v9, -v5
	v_cndmask_b32_e64 v3, 0, 1, vcc
	v_add_u32_e32 v20, 0xfffffc10, v10
	v_cvt_f32_f16_e32 v5, v5
	v_or_b32_e32 v3, v21, v3
	v_lshl_or_b32 v10, v20, 12, v1
	v_cmp_gt_i32_e32 vcc, 1, v20
	v_cndmask_b32_e32 v3, v10, v3, vcc
	v_and_b32_e32 v10, 7, v3
	v_cmp_lt_i32_e32 vcc, 5, v10
	v_cmp_eq_u32_e64 s[0:1], 3, v10
	v_cvt_f64_f32_e32 v[9:10], v5
	v_lshrrev_b32_e32 v3, 2, v3
	s_or_b64 vcc, s[0:1], vcc
	v_addc_co_u32_e32 v3, vcc, 0, v3, vcc
	v_mul_f64 v[9:10], v[9:10], s[4:5]
	v_cmp_gt_i32_e32 vcc, 31, v20
	v_cndmask_b32_e32 v3, v13, v3, vcc
	v_cmp_ne_u32_e32 vcc, 0, v1
	v_cndmask_b32_e64 v1, 0, 1, vcc
	v_lshl_or_b32 v1, v1, 9, v13
	v_cmp_eq_u32_e32 vcc, s10, v20
	v_cndmask_b32_e32 v1, v3, v1, vcc
	v_lshrrev_b32_e32 v2, 16, v2
	v_and_or_b32 v3, v2, s11, v1
	v_and_or_b32 v1, v10, s6, v9
	v_cmp_ne_u32_e32 vcc, 0, v1
	v_cndmask_b32_e64 v1, 0, 1, vcc
	v_lshrrev_b32_e32 v2, 8, v10
	v_and_or_b32 v5, v2, s7, v1
	v_bfe_u32 v2, v10, 20, 11
	v_sub_u32_e32 v9, 0x3f1, v2
	v_or_b32_e32 v1, 0x1000, v5
	v_med3_i32 v9, v9, 0, 13
	v_lshrrev_b32_e32 v20, v9, v1
	v_lshlrev_b32_e32 v9, v9, v20
	v_cmp_ne_u32_e32 vcc, v9, v1
	v_cndmask_b32_e64 v1, 0, 1, vcc
	v_add_u32_e32 v9, 0xfffffc10, v2
	v_or_b32_e32 v1, v20, v1
	v_lshl_or_b32 v2, v9, 12, v5
	v_cmp_gt_i32_e32 vcc, 1, v9
	v_cndmask_b32_e32 v1, v2, v1, vcc
	v_and_b32_e32 v2, 7, v1
	v_cmp_lt_i32_e32 vcc, 5, v2
	v_cmp_eq_u32_e64 s[0:1], 3, v2
	v_lshrrev_b32_e32 v1, 2, v1
	s_or_b64 vcc, s[0:1], vcc
	v_addc_co_u32_e32 v20, vcc, 0, v1, vcc
	ds_read2_b32 v[1:2], v19 offset0:2 offset1:57
	v_cmp_gt_i32_e32 vcc, 31, v9
	v_cndmask_b32_e32 v20, v13, v20, vcc
	v_cmp_ne_u32_e32 vcc, 0, v5
	v_cndmask_b32_e64 v5, 0, 1, vcc
	s_waitcnt lgkmcnt(0)
	v_lshrrev_b32_e32 v22, 16, v2
	v_mul_f16_sdwa v21, v170, v22 dst_sel:DWORD dst_unused:UNUSED_PAD src0_sel:WORD_1 src1_sel:DWORD
	v_fma_f16 v21, v170, v2, v21
	v_cvt_f32_f16_e32 v21, v21
	v_lshl_or_b32 v5, v5, 9, v13
	v_cmp_eq_u32_e32 vcc, s10, v9
	v_cndmask_b32_e32 v5, v20, v5, vcc
	v_cvt_f64_f32_e32 v[20:21], v21
	v_lshrrev_b32_e32 v9, 16, v10
	v_and_or_b32 v5, v9, s11, v5
	v_and_b32_e32 v3, 0xffff, v3
	v_mul_f64 v[9:10], v[20:21], s[4:5]
	v_lshl_or_b32 v3, v5, 16, v3
	v_mov_b32_e32 v5, s2
	v_add_co_u32_e32 v20, vcc, s3, v7
	v_addc_co_u32_e32 v21, vcc, v8, v5, vcc
	global_store_dword v[20:21], v3, off
	v_and_or_b32 v3, v10, s6, v9
	v_cmp_ne_u32_e32 vcc, 0, v3
	v_cndmask_b32_e64 v3, 0, 1, vcc
	v_lshrrev_b32_e32 v5, 8, v10
	v_bfe_u32 v7, v10, 20, 11
	v_and_or_b32 v5, v5, s7, v3
	v_sub_u32_e32 v8, 0x3f1, v7
	v_or_b32_e32 v3, 0x1000, v5
	v_med3_i32 v8, v8, 0, 13
	v_lshrrev_b32_e32 v9, v8, v3
	v_lshlrev_b32_e32 v8, v8, v9
	v_mul_f16_sdwa v2, v170, v2 dst_sel:DWORD dst_unused:UNUSED_PAD src0_sel:WORD_1 src1_sel:DWORD
	v_cmp_ne_u32_e32 vcc, v8, v3
	v_fma_f16 v2, v170, v22, -v2
	v_cndmask_b32_e64 v3, 0, 1, vcc
	v_add_u32_e32 v7, 0xfffffc10, v7
	v_cvt_f32_f16_e32 v2, v2
	v_or_b32_e32 v3, v9, v3
	v_lshl_or_b32 v8, v7, 12, v5
	v_cmp_gt_i32_e32 vcc, 1, v7
	v_cndmask_b32_e32 v3, v8, v3, vcc
	v_and_b32_e32 v8, 7, v3
	v_cmp_lt_i32_e32 vcc, 5, v8
	v_cmp_eq_u32_e64 s[0:1], 3, v8
	v_lshrrev_b32_e32 v8, 2, v3
	v_cvt_f64_f32_e32 v[2:3], v2
	s_or_b64 vcc, s[0:1], vcc
	v_addc_co_u32_e32 v8, vcc, 0, v8, vcc
	v_mul_f64 v[2:3], v[2:3], s[4:5]
	v_cmp_gt_i32_e32 vcc, 31, v7
	v_cndmask_b32_e32 v8, v13, v8, vcc
	v_cmp_ne_u32_e32 vcc, 0, v5
	v_cndmask_b32_e64 v5, 0, 1, vcc
	v_lshl_or_b32 v5, v5, 9, v13
	v_cmp_eq_u32_e32 vcc, s10, v7
	v_cndmask_b32_e32 v5, v8, v5, vcc
	v_and_or_b32 v2, v3, s6, v2
	v_lshrrev_b32_e32 v7, 16, v10
	v_cmp_ne_u32_e32 vcc, 0, v2
	v_and_or_b32 v5, v7, s11, v5
	v_cndmask_b32_e64 v2, 0, 1, vcc
	v_lshrrev_b32_e32 v7, 8, v3
	v_bfe_u32 v8, v3, 20, 11
	v_and_or_b32 v2, v7, s7, v2
	v_sub_u32_e32 v9, 0x3f1, v8
	v_or_b32_e32 v7, 0x1000, v2
	v_med3_i32 v9, v9, 0, 13
	v_lshrrev_b32_e32 v10, v9, v7
	v_lshlrev_b32_e32 v9, v9, v10
	v_cmp_ne_u32_e32 vcc, v9, v7
	v_cndmask_b32_e64 v7, 0, 1, vcc
	v_add_u32_e32 v9, 0xfffffc10, v8
	v_or_b32_e32 v7, v10, v7
	v_lshl_or_b32 v8, v9, 12, v2
	v_cmp_gt_i32_e32 vcc, 1, v9
	v_cndmask_b32_e32 v7, v8, v7, vcc
	v_and_b32_e32 v8, 7, v7
	v_cmp_lt_i32_e32 vcc, 5, v8
	v_cmp_eq_u32_e64 s[0:1], 3, v8
	v_lshrrev_b32_e32 v7, 2, v7
	s_or_b64 vcc, s[0:1], vcc
	v_addc_co_u32_e32 v10, vcc, 0, v7, vcc
	ds_read2_b32 v[7:8], v16 offset0:76 offset1:131
	v_cmp_gt_i32_e32 vcc, 31, v9
	v_cndmask_b32_e32 v10, v13, v10, vcc
	v_cmp_ne_u32_e32 vcc, 0, v2
	v_cndmask_b32_e64 v2, 0, 1, vcc
	s_waitcnt lgkmcnt(0)
	v_lshrrev_b32_e32 v22, 16, v7
	v_mul_f16_sdwa v23, v169, v22 dst_sel:DWORD dst_unused:UNUSED_PAD src0_sel:WORD_1 src1_sel:DWORD
	v_fma_f16 v23, v169, v7, v23
	v_cvt_f32_f16_e32 v23, v23
	v_lshl_or_b32 v2, v2, 9, v13
	v_cmp_eq_u32_e32 vcc, s10, v9
	v_cndmask_b32_e32 v2, v10, v2, vcc
	v_cvt_f64_f32_e32 v[9:10], v23
	v_lshrrev_b32_e32 v3, 16, v3
	v_and_or_b32 v23, v3, s11, v2
	v_and_b32_e32 v5, 0xffff, v5
	v_mul_f64 v[2:3], v[9:10], s[4:5]
	v_mov_b32_e32 v10, s2
	v_add_co_u32_e32 v9, vcc, s3, v20
	v_addc_co_u32_e32 v10, vcc, v21, v10, vcc
	v_lshl_or_b32 v5, v23, 16, v5
	global_store_dword v[9:10], v5, off
	v_and_or_b32 v2, v3, s6, v2
	v_cmp_ne_u32_e32 vcc, 0, v2
	v_cndmask_b32_e64 v2, 0, 1, vcc
	v_lshrrev_b32_e32 v5, 8, v3
	v_bfe_u32 v20, v3, 20, 11
	v_and_or_b32 v2, v5, s7, v2
	v_sub_u32_e32 v21, 0x3f1, v20
	v_or_b32_e32 v5, 0x1000, v2
	v_med3_i32 v21, v21, 0, 13
	v_lshrrev_b32_e32 v23, v21, v5
	v_lshlrev_b32_e32 v21, v21, v23
	v_cmp_ne_u32_e32 vcc, v21, v5
	v_mul_f16_sdwa v7, v169, v7 dst_sel:DWORD dst_unused:UNUSED_PAD src0_sel:WORD_1 src1_sel:DWORD
	v_cndmask_b32_e64 v5, 0, 1, vcc
	v_fma_f16 v7, v169, v22, -v7
	v_or_b32_e32 v5, v23, v5
	v_add_u32_e32 v23, 0xfffffc10, v20
	v_cvt_f32_f16_e32 v7, v7
	v_lshl_or_b32 v20, v23, 12, v2
	v_cmp_gt_i32_e32 vcc, 1, v23
	v_cndmask_b32_e32 v5, v20, v5, vcc
	v_and_b32_e32 v20, 7, v5
	v_cmp_lt_i32_e32 vcc, 5, v20
	v_cmp_eq_u32_e64 s[0:1], 3, v20
	v_cvt_f64_f32_e32 v[20:21], v7
	v_lshrrev_b32_e32 v5, 2, v5
	s_or_b64 vcc, s[0:1], vcc
	v_addc_co_u32_e32 v5, vcc, 0, v5, vcc
	v_mul_f64 v[20:21], v[20:21], s[4:5]
	v_cmp_gt_i32_e32 vcc, 31, v23
	v_cndmask_b32_e32 v5, v13, v5, vcc
	v_cmp_ne_u32_e32 vcc, 0, v2
	v_cndmask_b32_e64 v2, 0, 1, vcc
	v_lshl_or_b32 v2, v2, 9, v13
	v_cmp_eq_u32_e32 vcc, s10, v23
	v_cndmask_b32_e32 v2, v5, v2, vcc
	v_lshrrev_b32_e32 v3, 16, v3
	v_and_or_b32 v5, v3, s11, v2
	v_and_or_b32 v2, v21, s6, v20
	v_cmp_ne_u32_e32 vcc, 0, v2
	v_cndmask_b32_e64 v2, 0, 1, vcc
	v_lshrrev_b32_e32 v3, 8, v21
	v_and_or_b32 v7, v3, s7, v2
	v_bfe_u32 v3, v21, 20, 11
	v_sub_u32_e32 v20, 0x3f1, v3
	v_or_b32_e32 v2, 0x1000, v7
	v_med3_i32 v20, v20, 0, 13
	v_lshrrev_b32_e32 v22, v20, v2
	v_lshlrev_b32_e32 v20, v20, v22
	v_cmp_ne_u32_e32 vcc, v20, v2
	v_cndmask_b32_e64 v2, 0, 1, vcc
	v_add_u32_e32 v20, 0xfffffc10, v3
	v_or_b32_e32 v2, v22, v2
	v_lshl_or_b32 v3, v20, 12, v7
	v_cmp_gt_i32_e32 vcc, 1, v20
	v_cndmask_b32_e32 v2, v3, v2, vcc
	v_and_b32_e32 v3, 7, v2
	v_cmp_lt_i32_e32 vcc, 5, v3
	v_cmp_eq_u32_e64 s[0:1], 3, v3
	v_lshrrev_b32_e32 v2, 2, v2
	s_or_b64 vcc, s[0:1], vcc
	v_addc_co_u32_e32 v22, vcc, 0, v2, vcc
	ds_read2_b32 v[2:3], v18 offset0:40 offset1:95
	v_cmp_gt_i32_e32 vcc, 31, v20
	v_cndmask_b32_e32 v22, v13, v22, vcc
	v_cmp_ne_u32_e32 vcc, 0, v7
	v_cndmask_b32_e64 v7, 0, 1, vcc
	s_waitcnt lgkmcnt(0)
	v_lshrrev_b32_e32 v24, 16, v3
	v_mul_f16_sdwa v23, v168, v24 dst_sel:DWORD dst_unused:UNUSED_PAD src0_sel:WORD_1 src1_sel:DWORD
	v_fma_f16 v23, v168, v3, v23
	v_cvt_f32_f16_e32 v23, v23
	v_lshl_or_b32 v7, v7, 9, v13
	v_cmp_eq_u32_e32 vcc, s10, v20
	v_cndmask_b32_e32 v7, v22, v7, vcc
	v_cvt_f64_f32_e32 v[22:23], v23
	v_lshrrev_b32_e32 v20, 16, v21
	v_and_or_b32 v7, v20, s11, v7
	v_and_b32_e32 v5, 0xffff, v5
	v_mul_f64 v[20:21], v[22:23], s[4:5]
	v_lshl_or_b32 v5, v7, 16, v5
	v_mov_b32_e32 v7, s2
	v_add_co_u32_e32 v22, vcc, s3, v9
	v_addc_co_u32_e32 v23, vcc, v10, v7, vcc
	global_store_dword v[22:23], v5, off
	v_and_or_b32 v5, v21, s6, v20
	v_cmp_ne_u32_e32 vcc, 0, v5
	v_cndmask_b32_e64 v5, 0, 1, vcc
	v_lshrrev_b32_e32 v7, 8, v21
	v_bfe_u32 v9, v21, 20, 11
	v_and_or_b32 v5, v7, s7, v5
	v_sub_u32_e32 v10, 0x3f1, v9
	v_or_b32_e32 v7, 0x1000, v5
	v_med3_i32 v10, v10, 0, 13
	v_lshrrev_b32_e32 v20, v10, v7
	v_lshlrev_b32_e32 v10, v10, v20
	v_cmp_ne_u32_e32 vcc, v10, v7
	v_mul_f16_sdwa v3, v168, v3 dst_sel:DWORD dst_unused:UNUSED_PAD src0_sel:WORD_1 src1_sel:DWORD
	v_cndmask_b32_e64 v7, 0, 1, vcc
	v_fma_f16 v3, v168, v24, -v3
	v_or_b32_e32 v7, v20, v7
	v_add_u32_e32 v20, 0xfffffc10, v9
	v_cvt_f32_f16_e32 v3, v3
	v_lshl_or_b32 v9, v20, 12, v5
	v_cmp_gt_i32_e32 vcc, 1, v20
	v_cndmask_b32_e32 v7, v9, v7, vcc
	v_and_b32_e32 v9, 7, v7
	v_cmp_lt_i32_e32 vcc, 5, v9
	v_cmp_eq_u32_e64 s[0:1], 3, v9
	v_cvt_f64_f32_e32 v[9:10], v3
	v_lshrrev_b32_e32 v7, 2, v7
	s_or_b64 vcc, s[0:1], vcc
	v_addc_co_u32_e32 v3, vcc, 0, v7, vcc
	v_mul_f64 v[24:25], v[9:10], s[4:5]
	v_cmp_gt_i32_e32 vcc, 31, v20
	v_cndmask_b32_e32 v3, v13, v3, vcc
	v_cmp_ne_u32_e32 vcc, 0, v5
	v_cndmask_b32_e64 v5, 0, 1, vcc
	v_lshl_or_b32 v5, v5, 9, v13
	v_cmp_eq_u32_e32 vcc, s10, v20
	v_cndmask_b32_e32 v3, v3, v5, vcc
	v_lshrrev_b32_e32 v5, 16, v21
	v_and_or_b32 v3, v5, s11, v3
	v_and_or_b32 v5, v25, s6, v24
	v_cmp_ne_u32_e32 vcc, 0, v5
	v_cndmask_b32_e64 v5, 0, 1, vcc
	v_lshrrev_b32_e32 v7, 8, v25
	v_bfe_u32 v9, v25, 20, 11
	v_and_or_b32 v5, v7, s7, v5
	v_sub_u32_e32 v10, 0x3f1, v9
	v_or_b32_e32 v7, 0x1000, v5
	v_med3_i32 v10, v10, 0, 13
	v_lshrrev_b32_e32 v20, v10, v7
	v_lshlrev_b32_e32 v10, v10, v20
	v_cmp_ne_u32_e32 vcc, v10, v7
	v_cndmask_b32_e64 v7, 0, 1, vcc
	v_or_b32_e32 v7, v20, v7
	v_add_u32_e32 v20, 0xfffffc10, v9
	v_lshl_or_b32 v9, v20, 12, v5
	v_cmp_gt_i32_e32 vcc, 1, v20
	v_cndmask_b32_e32 v7, v9, v7, vcc
	v_and_b32_e32 v9, 7, v7
	v_cmp_lt_i32_e32 vcc, 5, v9
	v_cmp_eq_u32_e64 s[0:1], 3, v9
	ds_read2_b32 v[9:10], v11 offset0:114 offset1:169
	v_lshrrev_b32_e32 v7, 2, v7
	s_or_b64 vcc, s[0:1], vcc
	v_addc_co_u32_e32 v7, vcc, 0, v7, vcc
	s_waitcnt lgkmcnt(0)
	v_lshrrev_b32_e32 v24, 16, v9
	v_mul_f16_sdwa v21, v171, v24 dst_sel:DWORD dst_unused:UNUSED_PAD src0_sel:WORD_1 src1_sel:DWORD
	v_fma_f16 v21, v171, v9, v21
	v_cvt_f32_f16_e32 v21, v21
	v_cmp_gt_i32_e32 vcc, 31, v20
	v_cndmask_b32_e32 v7, v13, v7, vcc
	v_cmp_ne_u32_e32 vcc, 0, v5
	v_cndmask_b32_e64 v5, 0, 1, vcc
	v_cmp_eq_u32_e32 vcc, s10, v20
	v_cvt_f64_f32_e32 v[20:21], v21
	v_lshl_or_b32 v5, v5, 9, v13
	v_cndmask_b32_e32 v5, v7, v5, vcc
	v_lshrrev_b32_e32 v7, 16, v25
	v_mul_f64 v[20:21], v[20:21], s[4:5]
	v_and_or_b32 v5, v7, s11, v5
	v_and_b32_e32 v3, 0xffff, v3
	v_lshl_or_b32 v3, v5, 16, v3
	v_mov_b32_e32 v5, s2
	v_add_co_u32_e32 v22, vcc, s3, v22
	v_addc_co_u32_e32 v23, vcc, v23, v5, vcc
	global_store_dword v[22:23], v3, off
	v_and_or_b32 v3, v21, s6, v20
	v_cmp_ne_u32_e32 vcc, 0, v3
	v_cndmask_b32_e64 v3, 0, 1, vcc
	v_lshrrev_b32_e32 v5, 8, v21
	v_bfe_u32 v7, v21, 20, 11
	v_and_or_b32 v3, v5, s7, v3
	v_sub_u32_e32 v20, 0x3f1, v7
	v_mul_f16_sdwa v9, v171, v9 dst_sel:DWORD dst_unused:UNUSED_PAD src0_sel:WORD_1 src1_sel:DWORD
	v_or_b32_e32 v5, 0x1000, v3
	v_med3_i32 v20, v20, 0, 13
	v_fma_f16 v9, v171, v24, -v9
	v_lshrrev_b32_e32 v25, v20, v5
	v_cvt_f32_f16_e32 v9, v9
	v_lshlrev_b32_e32 v20, v20, v25
	v_cmp_ne_u32_e32 vcc, v20, v5
	v_cndmask_b32_e64 v5, 0, 1, vcc
	v_or_b32_e32 v5, v25, v5
	v_add_u32_e32 v7, 0xfffffc10, v7
	v_cvt_f64_f32_e32 v[24:25], v9
	v_lshl_or_b32 v20, v7, 12, v3
	v_cmp_gt_i32_e32 vcc, 1, v7
	v_cndmask_b32_e32 v5, v20, v5, vcc
	v_and_b32_e32 v20, 7, v5
	v_cmp_lt_i32_e32 vcc, 5, v20
	v_cmp_eq_u32_e64 s[0:1], 3, v20
	v_mul_f64 v[24:25], v[24:25], s[4:5]
	v_lshrrev_b32_e32 v5, 2, v5
	s_or_b64 vcc, s[0:1], vcc
	v_addc_co_u32_e32 v5, vcc, 0, v5, vcc
	v_cmp_gt_i32_e32 vcc, 31, v7
	v_cndmask_b32_e32 v5, v13, v5, vcc
	v_cmp_ne_u32_e32 vcc, 0, v3
	v_cndmask_b32_e64 v3, 0, 1, vcc
	v_lshl_or_b32 v3, v3, 9, v13
	v_cmp_eq_u32_e32 vcc, s10, v7
	v_cndmask_b32_e32 v3, v5, v3, vcc
	v_lshrrev_b32_e32 v5, 16, v21
	v_and_or_b32 v3, v5, s11, v3
	v_and_or_b32 v5, v25, s6, v24
	v_cmp_ne_u32_e32 vcc, 0, v5
	v_cndmask_b32_e64 v5, 0, 1, vcc
	v_lshrrev_b32_e32 v7, 8, v25
	v_bfe_u32 v9, v25, 20, 11
	v_and_or_b32 v5, v7, s7, v5
	v_sub_u32_e32 v20, 0x3f1, v9
	v_or_b32_e32 v7, 0x1000, v5
	v_med3_i32 v20, v20, 0, 13
	v_lshrrev_b32_e32 v21, v20, v7
	v_lshlrev_b32_e32 v20, v20, v21
	v_cmp_ne_u32_e32 vcc, v20, v7
	v_cndmask_b32_e64 v7, 0, 1, vcc
	v_add_u32_e32 v9, 0xfffffc10, v9
	v_or_b32_e32 v7, v21, v7
	v_lshl_or_b32 v20, v9, 12, v5
	v_cmp_gt_i32_e32 vcc, 1, v9
	v_cndmask_b32_e32 v7, v20, v7, vcc
	v_and_b32_e32 v20, 7, v7
	v_lshrrev_b32_e32 v24, 16, v4
	v_cmp_lt_i32_e32 vcc, 5, v20
	v_cmp_eq_u32_e64 s[0:1], 3, v20
	v_mul_f16_sdwa v20, v166, v24 dst_sel:DWORD dst_unused:UNUSED_PAD src0_sel:WORD_1 src1_sel:DWORD
	v_fma_f16 v20, v166, v4, v20
	v_cvt_f32_f16_e32 v20, v20
	v_lshrrev_b32_e32 v7, 2, v7
	s_or_b64 vcc, s[0:1], vcc
	v_addc_co_u32_e32 v7, vcc, 0, v7, vcc
	v_cvt_f64_f32_e32 v[20:21], v20
	v_cmp_gt_i32_e32 vcc, 31, v9
	v_cndmask_b32_e32 v7, v13, v7, vcc
	v_cmp_ne_u32_e32 vcc, 0, v5
	v_mul_f64 v[20:21], v[20:21], s[4:5]
	v_cndmask_b32_e64 v5, 0, 1, vcc
	v_lshl_or_b32 v5, v5, 9, v13
	v_cmp_eq_u32_e32 vcc, s10, v9
	v_cndmask_b32_e32 v5, v7, v5, vcc
	v_lshrrev_b32_e32 v7, 16, v25
	v_and_or_b32 v5, v7, s11, v5
	v_and_b32_e32 v3, 0xffff, v3
	v_lshl_or_b32 v3, v5, 16, v3
	v_mov_b32_e32 v5, s2
	v_add_co_u32_e32 v22, vcc, s3, v22
	v_addc_co_u32_e32 v23, vcc, v23, v5, vcc
	global_store_dword v[22:23], v3, off
	v_and_or_b32 v3, v21, s6, v20
	v_cmp_ne_u32_e32 vcc, 0, v3
	v_cndmask_b32_e64 v3, 0, 1, vcc
	v_lshrrev_b32_e32 v5, 8, v21
	v_bfe_u32 v7, v21, 20, 11
	v_and_or_b32 v5, v5, s7, v3
	v_sub_u32_e32 v9, 0x3f1, v7
	v_or_b32_e32 v3, 0x1000, v5
	v_med3_i32 v9, v9, 0, 13
	v_lshrrev_b32_e32 v20, v9, v3
	v_lshlrev_b32_e32 v9, v9, v20
	v_mul_f16_sdwa v4, v166, v4 dst_sel:DWORD dst_unused:UNUSED_PAD src0_sel:WORD_1 src1_sel:DWORD
	v_cmp_ne_u32_e32 vcc, v9, v3
	v_fma_f16 v4, v166, v24, -v4
	v_cndmask_b32_e64 v3, 0, 1, vcc
	v_add_u32_e32 v7, 0xfffffc10, v7
	v_cvt_f32_f16_e32 v4, v4
	v_or_b32_e32 v3, v20, v3
	v_lshl_or_b32 v9, v7, 12, v5
	v_cmp_gt_i32_e32 vcc, 1, v7
	v_cndmask_b32_e32 v3, v9, v3, vcc
	v_and_b32_e32 v9, 7, v3
	v_cmp_lt_i32_e32 vcc, 5, v9
	v_cmp_eq_u32_e64 s[0:1], 3, v9
	v_lshrrev_b32_e32 v9, 2, v3
	v_cvt_f64_f32_e32 v[3:4], v4
	s_or_b64 vcc, s[0:1], vcc
	v_addc_co_u32_e32 v9, vcc, 0, v9, vcc
	v_mul_f64 v[24:25], v[3:4], s[4:5]
	v_cmp_gt_i32_e32 vcc, 31, v7
	v_cndmask_b32_e32 v9, v13, v9, vcc
	v_cmp_ne_u32_e32 vcc, 0, v5
	v_cndmask_b32_e64 v3, 0, 1, vcc
	v_lshl_or_b32 v3, v3, 9, v13
	v_cmp_eq_u32_e32 vcc, s10, v7
	v_cndmask_b32_e32 v3, v9, v3, vcc
	v_lshrrev_b32_e32 v4, 16, v21
	v_and_or_b32 v3, v4, s11, v3
	v_and_or_b32 v4, v25, s6, v24
	v_cmp_ne_u32_e32 vcc, 0, v4
	v_cndmask_b32_e64 v4, 0, 1, vcc
	v_lshrrev_b32_e32 v5, 8, v25
	v_bfe_u32 v7, v25, 20, 11
	v_and_or_b32 v4, v5, s7, v4
	v_sub_u32_e32 v9, 0x3f1, v7
	v_or_b32_e32 v5, 0x1000, v4
	v_med3_i32 v9, v9, 0, 13
	v_lshrrev_b32_e32 v20, v9, v5
	v_lshlrev_b32_e32 v9, v9, v20
	v_cmp_ne_u32_e32 vcc, v9, v5
	v_cndmask_b32_e64 v5, 0, 1, vcc
	v_add_u32_e32 v7, 0xfffffc10, v7
	v_or_b32_e32 v5, v20, v5
	v_lshl_or_b32 v9, v7, 12, v4
	v_cmp_gt_i32_e32 vcc, 1, v7
	v_cndmask_b32_e32 v5, v9, v5, vcc
	v_and_b32_e32 v9, 7, v5
	v_cmp_lt_i32_e32 vcc, 5, v9
	v_cmp_eq_u32_e64 s[0:1], 3, v9
	v_lshrrev_b32_e32 v5, 2, v5
	s_or_b64 vcc, s[0:1], vcc
	v_addc_co_u32_e32 v5, vcc, 0, v5, vcc
	v_cmp_gt_i32_e32 vcc, 31, v7
	v_cndmask_b32_e32 v9, v13, v5, vcc
	v_cmp_ne_u32_e32 vcc, 0, v4
	v_cndmask_b32_e64 v4, 0, 1, vcc
	v_lshl_or_b32 v20, v4, 9, v13
	ds_read2_b32 v[4:5], v14 offset0:74 offset1:129
	v_cmp_eq_u32_e32 vcc, s10, v7
	v_cndmask_b32_e32 v7, v9, v20, vcc
	v_lshrrev_b32_e32 v9, 16, v25
	v_and_or_b32 v7, v9, s11, v7
	s_waitcnt lgkmcnt(0)
	v_lshrrev_b32_e32 v9, 16, v4
	v_mul_f16_sdwa v20, v163, v9 dst_sel:DWORD dst_unused:UNUSED_PAD src0_sel:WORD_1 src1_sel:DWORD
	v_fma_f16 v20, v163, v4, v20
	v_cvt_f32_f16_e32 v20, v20
	s_mul_hi_u32 s1, s8, 0xffffe714
	s_mul_i32 s0, s9, 0xffffe714
	s_sub_i32 s9, s1, s8
	v_cvt_f64_f32_e32 v[20:21], v20
	v_and_b32_e32 v3, 0xffff, v3
	s_add_i32 s9, s9, s0
	s_mulk_i32 s8, 0xe714
	v_mul_f64 v[20:21], v[20:21], s[4:5]
	v_lshl_or_b32 v3, v7, 16, v3
	v_mov_b32_e32 v7, s9
	v_add_co_u32_e32 v22, vcc, s8, v22
	v_addc_co_u32_e32 v23, vcc, v23, v7, vcc
	global_store_dword v[22:23], v3, off
	v_and_or_b32 v3, v21, s6, v20
	v_cmp_ne_u32_e32 vcc, 0, v3
	v_cndmask_b32_e64 v3, 0, 1, vcc
	v_lshrrev_b32_e32 v7, 8, v21
	v_bfe_u32 v20, v21, 20, 11
	v_and_or_b32 v7, v7, s7, v3
	v_sub_u32_e32 v24, 0x3f1, v20
	v_or_b32_e32 v3, 0x1000, v7
	v_med3_i32 v24, v24, 0, 13
	v_lshrrev_b32_e32 v25, v24, v3
	v_mul_f16_sdwa v4, v163, v4 dst_sel:DWORD dst_unused:UNUSED_PAD src0_sel:WORD_1 src1_sel:DWORD
	v_lshlrev_b32_e32 v24, v24, v25
	v_fma_f16 v4, v163, v9, -v4
	v_cmp_ne_u32_e32 vcc, v24, v3
	v_cvt_f32_f16_e32 v4, v4
	v_cndmask_b32_e64 v3, 0, 1, vcc
	v_add_u32_e32 v20, 0xfffffc10, v20
	v_or_b32_e32 v3, v25, v3
	v_lshl_or_b32 v24, v20, 12, v7
	v_cmp_gt_i32_e32 vcc, 1, v20
	v_cndmask_b32_e32 v3, v24, v3, vcc
	v_and_b32_e32 v24, 7, v3
	v_lshrrev_b32_e32 v9, 2, v3
	v_cvt_f64_f32_e32 v[3:4], v4
	v_cmp_lt_i32_e32 vcc, 5, v24
	v_cmp_eq_u32_e64 s[0:1], 3, v24
	s_or_b64 vcc, s[0:1], vcc
	v_mul_f64 v[3:4], v[3:4], s[4:5]
	v_addc_co_u32_e32 v9, vcc, 0, v9, vcc
	v_cmp_gt_i32_e32 vcc, 31, v20
	v_cndmask_b32_e32 v9, v13, v9, vcc
	v_cmp_ne_u32_e32 vcc, 0, v7
	v_cndmask_b32_e64 v7, 0, 1, vcc
	v_lshl_or_b32 v7, v7, 9, v13
	v_cmp_eq_u32_e32 vcc, s10, v20
	v_and_or_b32 v3, v4, s6, v3
	v_cndmask_b32_e32 v7, v9, v7, vcc
	v_lshrrev_b32_e32 v9, 16, v21
	v_cmp_ne_u32_e32 vcc, 0, v3
	v_and_or_b32 v7, v9, s11, v7
	v_cndmask_b32_e64 v3, 0, 1, vcc
	v_lshrrev_b32_e32 v9, 8, v4
	v_bfe_u32 v20, v4, 20, 11
	v_and_or_b32 v3, v9, s7, v3
	v_sub_u32_e32 v21, 0x3f1, v20
	v_or_b32_e32 v9, 0x1000, v3
	v_med3_i32 v21, v21, 0, 13
	v_lshrrev_b32_e32 v24, v21, v9
	v_lshlrev_b32_e32 v21, v21, v24
	v_cmp_ne_u32_e32 vcc, v21, v9
	v_cndmask_b32_e64 v9, 0, 1, vcc
	v_add_u32_e32 v20, 0xfffffc10, v20
	v_or_b32_e32 v9, v24, v9
	v_lshl_or_b32 v21, v20, 12, v3
	v_cmp_gt_i32_e32 vcc, 1, v20
	v_cndmask_b32_e32 v9, v21, v9, vcc
	v_and_b32_e32 v21, 7, v9
	v_lshrrev_b32_e32 v24, 16, v6
	v_cmp_lt_i32_e32 vcc, 5, v21
	v_cmp_eq_u32_e64 s[0:1], 3, v21
	v_mul_f16_sdwa v21, v165, v24 dst_sel:DWORD dst_unused:UNUSED_PAD src0_sel:WORD_1 src1_sel:DWORD
	v_fma_f16 v21, v165, v6, v21
	v_lshrrev_b32_e32 v9, 2, v9
	s_or_b64 vcc, s[0:1], vcc
	v_cvt_f32_f16_e32 v21, v21
	v_addc_co_u32_e32 v9, vcc, 0, v9, vcc
	v_cmp_gt_i32_e32 vcc, 31, v20
	v_cndmask_b32_e32 v9, v13, v9, vcc
	v_cmp_ne_u32_e32 vcc, 0, v3
	v_cndmask_b32_e64 v3, 0, 1, vcc
	v_cmp_eq_u32_e32 vcc, s10, v20
	v_cvt_f64_f32_e32 v[20:21], v21
	v_lshl_or_b32 v3, v3, 9, v13
	v_cndmask_b32_e32 v3, v9, v3, vcc
	v_lshrrev_b32_e32 v4, 16, v4
	v_and_or_b32 v9, v4, s11, v3
	v_mul_f64 v[3:4], v[20:21], s[4:5]
	v_and_b32_e32 v7, 0xffff, v7
	v_lshl_or_b32 v7, v9, 16, v7
	v_mov_b32_e32 v9, s2
	v_add_co_u32_e32 v20, vcc, s3, v22
	v_addc_co_u32_e32 v21, vcc, v23, v9, vcc
	v_and_or_b32 v3, v4, s6, v3
	v_cmp_ne_u32_e32 vcc, 0, v3
	global_store_dword v[20:21], v7, off
	v_cndmask_b32_e64 v3, 0, 1, vcc
	v_lshrrev_b32_e32 v7, 8, v4
	v_bfe_u32 v9, v4, 20, 11
	v_and_or_b32 v3, v7, s7, v3
	v_sub_u32_e32 v22, 0x3f1, v9
	v_or_b32_e32 v7, 0x1000, v3
	v_med3_i32 v22, v22, 0, 13
	v_lshrrev_b32_e32 v23, v22, v7
	v_lshlrev_b32_e32 v22, v22, v23
	v_mul_f16_sdwa v6, v165, v6 dst_sel:DWORD dst_unused:UNUSED_PAD src0_sel:WORD_1 src1_sel:DWORD
	v_cmp_ne_u32_e32 vcc, v22, v7
	v_fma_f16 v6, v165, v24, -v6
	v_cndmask_b32_e64 v7, 0, 1, vcc
	v_add_u32_e32 v9, 0xfffffc10, v9
	v_cvt_f32_f16_e32 v6, v6
	v_or_b32_e32 v7, v23, v7
	v_lshl_or_b32 v22, v9, 12, v3
	v_cmp_gt_i32_e32 vcc, 1, v9
	v_cndmask_b32_e32 v7, v22, v7, vcc
	v_and_b32_e32 v22, 7, v7
	v_cmp_lt_i32_e32 vcc, 5, v22
	v_cmp_eq_u32_e64 s[0:1], 3, v22
	v_lshrrev_b32_e32 v22, 2, v7
	v_cvt_f64_f32_e32 v[6:7], v6
	s_or_b64 vcc, s[0:1], vcc
	v_addc_co_u32_e32 v22, vcc, 0, v22, vcc
	v_cmp_gt_i32_e32 vcc, 31, v9
	v_cndmask_b32_e32 v24, v13, v22, vcc
	v_mul_f64 v[22:23], v[6:7], s[4:5]
	v_cmp_ne_u32_e32 vcc, 0, v3
	v_cndmask_b32_e64 v3, 0, 1, vcc
	v_lshl_or_b32 v3, v3, 9, v13
	v_cmp_eq_u32_e32 vcc, s10, v9
	v_cndmask_b32_e32 v3, v24, v3, vcc
	v_lshrrev_b32_e32 v4, 16, v4
	v_and_or_b32 v9, v4, s11, v3
	v_and_or_b32 v3, v23, s6, v22
	v_cmp_ne_u32_e32 vcc, 0, v3
	v_cndmask_b32_e64 v3, 0, 1, vcc
	v_lshrrev_b32_e32 v4, 8, v23
	v_bfe_u32 v6, v23, 20, 11
	v_and_or_b32 v3, v4, s7, v3
	v_sub_u32_e32 v7, 0x3f1, v6
	v_or_b32_e32 v4, 0x1000, v3
	v_med3_i32 v7, v7, 0, 13
	v_lshrrev_b32_e32 v22, v7, v4
	v_lshlrev_b32_e32 v7, v7, v22
	v_cmp_ne_u32_e32 vcc, v7, v4
	v_cndmask_b32_e64 v4, 0, 1, vcc
	v_or_b32_e32 v4, v22, v4
	v_add_u32_e32 v22, 0xfffffc10, v6
	v_lshl_or_b32 v6, v22, 12, v3
	v_cmp_gt_i32_e32 vcc, 1, v22
	v_cndmask_b32_e32 v4, v6, v4, vcc
	v_and_b32_e32 v6, 7, v4
	v_cmp_lt_i32_e32 vcc, 5, v6
	v_cmp_eq_u32_e64 s[0:1], 3, v6
	ds_read2_b32 v[6:7], v19 offset0:112 offset1:167
	v_lshrrev_b32_e32 v4, 2, v4
	s_or_b64 vcc, s[0:1], vcc
	v_addc_co_u32_e32 v4, vcc, 0, v4, vcc
	s_waitcnt lgkmcnt(0)
	v_lshrrev_b32_e32 v24, 16, v6
	v_mul_f16_sdwa v19, v167, v24 dst_sel:DWORD dst_unused:UNUSED_PAD src0_sel:WORD_1 src1_sel:DWORD
	v_fma_f16 v19, v167, v6, v19
	v_cmp_gt_i32_e32 vcc, 31, v22
	v_cvt_f32_f16_e32 v19, v19
	v_cndmask_b32_e32 v4, v13, v4, vcc
	v_cmp_ne_u32_e32 vcc, 0, v3
	v_cndmask_b32_e64 v3, 0, 1, vcc
	v_lshl_or_b32 v3, v3, 9, v13
	v_cmp_eq_u32_e32 vcc, s10, v22
	v_cndmask_b32_e32 v22, v4, v3, vcc
	v_cvt_f64_f32_e32 v[3:4], v19
	v_lshrrev_b32_e32 v19, 16, v23
	v_and_or_b32 v19, v19, s11, v22
	v_and_b32_e32 v9, 0xffff, v9
	v_mul_f64 v[3:4], v[3:4], s[4:5]
	v_lshl_or_b32 v9, v19, 16, v9
	v_mov_b32_e32 v22, s2
	v_add_co_u32_e32 v19, vcc, s3, v20
	v_addc_co_u32_e32 v20, vcc, v21, v22, vcc
	global_store_dword v[19:20], v9, off
	v_and_or_b32 v3, v4, s6, v3
	v_cmp_ne_u32_e32 vcc, 0, v3
	v_cndmask_b32_e64 v3, 0, 1, vcc
	v_lshrrev_b32_e32 v9, 8, v4
	v_bfe_u32 v21, v4, 20, 11
	v_and_or_b32 v3, v9, s7, v3
	v_sub_u32_e32 v22, 0x3f1, v21
	v_or_b32_e32 v9, 0x1000, v3
	v_med3_i32 v22, v22, 0, 13
	v_lshrrev_b32_e32 v23, v22, v9
	v_lshlrev_b32_e32 v22, v22, v23
	v_cmp_ne_u32_e32 vcc, v22, v9
	v_mul_f16_sdwa v6, v167, v6 dst_sel:DWORD dst_unused:UNUSED_PAD src0_sel:WORD_1 src1_sel:DWORD
	v_cndmask_b32_e64 v9, 0, 1, vcc
	v_fma_f16 v6, v167, v24, -v6
	v_or_b32_e32 v9, v23, v9
	v_add_u32_e32 v23, 0xfffffc10, v21
	v_cvt_f32_f16_e32 v6, v6
	v_lshl_or_b32 v21, v23, 12, v3
	v_cmp_gt_i32_e32 vcc, 1, v23
	v_cndmask_b32_e32 v9, v21, v9, vcc
	v_and_b32_e32 v21, 7, v9
	v_cmp_lt_i32_e32 vcc, 5, v21
	v_cmp_eq_u32_e64 s[0:1], 3, v21
	v_cvt_f64_f32_e32 v[21:22], v6
	v_lshrrev_b32_e32 v9, 2, v9
	s_or_b64 vcc, s[0:1], vcc
	v_addc_co_u32_e32 v6, vcc, 0, v9, vcc
	v_mul_f64 v[21:22], v[21:22], s[4:5]
	v_cmp_gt_i32_e32 vcc, 31, v23
	v_cndmask_b32_e32 v6, v13, v6, vcc
	v_cmp_ne_u32_e32 vcc, 0, v3
	v_cndmask_b32_e64 v3, 0, 1, vcc
	v_lshl_or_b32 v3, v3, 9, v13
	v_cmp_eq_u32_e32 vcc, s10, v23
	v_cndmask_b32_e32 v3, v6, v3, vcc
	v_lshrrev_b32_e32 v4, 16, v4
	v_and_or_b32 v6, v4, s11, v3
	v_and_or_b32 v3, v22, s6, v21
	v_cmp_ne_u32_e32 vcc, 0, v3
	v_cndmask_b32_e64 v3, 0, 1, vcc
	v_lshrrev_b32_e32 v4, 8, v22
	v_bfe_u32 v9, v22, 20, 11
	v_and_or_b32 v3, v4, s7, v3
	v_sub_u32_e32 v21, 0x3f1, v9
	v_or_b32_e32 v4, 0x1000, v3
	v_med3_i32 v21, v21, 0, 13
	v_lshrrev_b32_e32 v23, v21, v4
	v_lshlrev_b32_e32 v21, v21, v23
	v_cmp_ne_u32_e32 vcc, v21, v4
	v_cndmask_b32_e64 v4, 0, 1, vcc
	v_add_u32_e32 v9, 0xfffffc10, v9
	v_or_b32_e32 v4, v23, v4
	v_lshl_or_b32 v21, v9, 12, v3
	v_cmp_gt_i32_e32 vcc, 1, v9
	v_cndmask_b32_e32 v4, v21, v4, vcc
	v_and_b32_e32 v21, 7, v4
	v_cmp_lt_i32_e32 vcc, 5, v21
	v_cmp_eq_u32_e64 s[0:1], 3, v21
	v_lshrrev_b32_e32 v21, 16, v8
	v_lshrrev_b32_e32 v4, 2, v4
	s_or_b64 vcc, s[0:1], vcc
	v_mul_f16_sdwa v23, v164, v21 dst_sel:DWORD dst_unused:UNUSED_PAD src0_sel:WORD_1 src1_sel:DWORD
	v_addc_co_u32_e32 v4, vcc, 0, v4, vcc
	v_fma_f16 v23, v164, v8, v23
	v_cmp_gt_i32_e32 vcc, 31, v9
	v_cvt_f32_f16_e32 v23, v23
	v_cndmask_b32_e32 v4, v13, v4, vcc
	v_cmp_ne_u32_e32 vcc, 0, v3
	v_cndmask_b32_e64 v3, 0, 1, vcc
	v_lshl_or_b32 v3, v3, 9, v13
	v_cmp_eq_u32_e32 vcc, s10, v9
	v_cndmask_b32_e32 v9, v4, v3, vcc
	v_cvt_f64_f32_e32 v[3:4], v23
	v_lshrrev_b32_e32 v22, 16, v22
	v_and_or_b32 v9, v22, s11, v9
	v_and_b32_e32 v6, 0xffff, v6
	v_mul_f64 v[3:4], v[3:4], s[4:5]
	v_lshl_or_b32 v6, v9, 16, v6
	v_mov_b32_e32 v9, s2
	v_add_co_u32_e32 v19, vcc, s3, v19
	v_addc_co_u32_e32 v20, vcc, v20, v9, vcc
	global_store_dword v[19:20], v6, off
	v_and_or_b32 v3, v4, s6, v3
	v_cmp_ne_u32_e32 vcc, 0, v3
	v_cndmask_b32_e64 v3, 0, 1, vcc
	v_lshrrev_b32_e32 v6, 8, v4
	v_bfe_u32 v9, v4, 20, 11
	v_and_or_b32 v3, v6, s7, v3
	v_sub_u32_e32 v22, 0x3f1, v9
	v_or_b32_e32 v6, 0x1000, v3
	v_med3_i32 v22, v22, 0, 13
	v_lshrrev_b32_e32 v23, v22, v6
	v_lshlrev_b32_e32 v22, v22, v23
	v_cmp_ne_u32_e32 vcc, v22, v6
	v_mul_f16_sdwa v8, v164, v8 dst_sel:DWORD dst_unused:UNUSED_PAD src0_sel:WORD_1 src1_sel:DWORD
	v_cndmask_b32_e64 v6, 0, 1, vcc
	v_fma_f16 v8, v164, v21, -v8
	v_or_b32_e32 v6, v23, v6
	v_add_u32_e32 v23, 0xfffffc10, v9
	v_cvt_f32_f16_e32 v8, v8
	v_lshl_or_b32 v9, v23, 12, v3
	v_cmp_gt_i32_e32 vcc, 1, v23
	v_cndmask_b32_e32 v6, v9, v6, vcc
	v_and_b32_e32 v9, 7, v6
	v_cmp_lt_i32_e32 vcc, 5, v9
	v_cmp_eq_u32_e64 s[0:1], 3, v9
	v_cvt_f64_f32_e32 v[8:9], v8
	v_lshrrev_b32_e32 v6, 2, v6
	s_or_b64 vcc, s[0:1], vcc
	v_addc_co_u32_e32 v6, vcc, 0, v6, vcc
	v_mul_f64 v[21:22], v[8:9], s[4:5]
	v_cmp_gt_i32_e32 vcc, 31, v23
	v_cndmask_b32_e32 v6, v13, v6, vcc
	v_cmp_ne_u32_e32 vcc, 0, v3
	v_cndmask_b32_e64 v3, 0, 1, vcc
	v_lshl_or_b32 v3, v3, 9, v13
	v_cmp_eq_u32_e32 vcc, s10, v23
	v_cndmask_b32_e32 v3, v6, v3, vcc
	v_lshrrev_b32_e32 v4, 16, v4
	v_and_or_b32 v6, v4, s11, v3
	v_and_or_b32 v3, v22, s6, v21
	v_cmp_ne_u32_e32 vcc, 0, v3
	v_cndmask_b32_e64 v3, 0, 1, vcc
	v_lshrrev_b32_e32 v4, 8, v22
	v_bfe_u32 v8, v22, 20, 11
	v_and_or_b32 v3, v4, s7, v3
	v_sub_u32_e32 v9, 0x3f1, v8
	v_or_b32_e32 v4, 0x1000, v3
	v_med3_i32 v9, v9, 0, 13
	v_lshrrev_b32_e32 v21, v9, v4
	v_lshlrev_b32_e32 v9, v9, v21
	v_cmp_ne_u32_e32 vcc, v9, v4
	v_cndmask_b32_e64 v4, 0, 1, vcc
	v_or_b32_e32 v4, v21, v4
	v_add_u32_e32 v21, 0xfffffc10, v8
	v_lshl_or_b32 v8, v21, 12, v3
	v_cmp_gt_i32_e32 vcc, 1, v21
	v_cndmask_b32_e32 v4, v8, v4, vcc
	v_and_b32_e32 v8, 7, v4
	v_cmp_lt_i32_e32 vcc, 5, v8
	v_cmp_eq_u32_e64 s[0:1], 3, v8
	ds_read2_b32 v[8:9], v18 offset0:150 offset1:205
	v_lshrrev_b32_e32 v4, 2, v4
	s_or_b64 vcc, s[0:1], vcc
	v_addc_co_u32_e32 v4, vcc, 0, v4, vcc
	s_waitcnt lgkmcnt(0)
	v_lshrrev_b32_e32 v23, 16, v8
	v_mul_f16_sdwa v18, v162, v23 dst_sel:DWORD dst_unused:UNUSED_PAD src0_sel:WORD_1 src1_sel:DWORD
	v_fma_f16 v18, v162, v8, v18
	v_cmp_gt_i32_e32 vcc, 31, v21
	v_cvt_f32_f16_e32 v18, v18
	v_cndmask_b32_e32 v4, v13, v4, vcc
	v_cmp_ne_u32_e32 vcc, 0, v3
	v_cndmask_b32_e64 v3, 0, 1, vcc
	v_lshl_or_b32 v3, v3, 9, v13
	v_cmp_eq_u32_e32 vcc, s10, v21
	v_cndmask_b32_e32 v21, v4, v3, vcc
	v_cvt_f64_f32_e32 v[3:4], v18
	v_lshrrev_b32_e32 v18, 16, v22
	v_and_or_b32 v18, v18, s11, v21
	v_and_b32_e32 v6, 0xffff, v6
	v_mul_f64 v[3:4], v[3:4], s[4:5]
	v_lshl_or_b32 v6, v18, 16, v6
	v_mov_b32_e32 v21, s2
	v_add_co_u32_e32 v18, vcc, s3, v19
	v_addc_co_u32_e32 v19, vcc, v20, v21, vcc
	global_store_dword v[18:19], v6, off
	v_and_or_b32 v3, v4, s6, v3
	v_cmp_ne_u32_e32 vcc, 0, v3
	v_cndmask_b32_e64 v3, 0, 1, vcc
	v_lshrrev_b32_e32 v6, 8, v4
	v_bfe_u32 v20, v4, 20, 11
	v_and_or_b32 v3, v6, s7, v3
	v_sub_u32_e32 v21, 0x3f1, v20
	v_or_b32_e32 v6, 0x1000, v3
	v_med3_i32 v21, v21, 0, 13
	v_lshrrev_b32_e32 v22, v21, v6
	v_lshlrev_b32_e32 v21, v21, v22
	v_cmp_ne_u32_e32 vcc, v21, v6
	v_mul_f16_sdwa v8, v162, v8 dst_sel:DWORD dst_unused:UNUSED_PAD src0_sel:WORD_1 src1_sel:DWORD
	v_cndmask_b32_e64 v6, 0, 1, vcc
	v_fma_f16 v8, v162, v23, -v8
	v_or_b32_e32 v6, v22, v6
	v_add_u32_e32 v22, 0xfffffc10, v20
	v_cvt_f32_f16_e32 v8, v8
	v_lshl_or_b32 v20, v22, 12, v3
	v_cmp_gt_i32_e32 vcc, 1, v22
	v_cndmask_b32_e32 v6, v20, v6, vcc
	v_and_b32_e32 v20, 7, v6
	v_cmp_lt_i32_e32 vcc, 5, v20
	v_cmp_eq_u32_e64 s[0:1], 3, v20
	v_cvt_f64_f32_e32 v[20:21], v8
	v_lshrrev_b32_e32 v6, 2, v6
	s_or_b64 vcc, s[0:1], vcc
	v_addc_co_u32_e32 v6, vcc, 0, v6, vcc
	v_mul_f64 v[20:21], v[20:21], s[4:5]
	v_cmp_gt_i32_e32 vcc, 31, v22
	v_cndmask_b32_e32 v6, v13, v6, vcc
	v_cmp_ne_u32_e32 vcc, 0, v3
	v_cndmask_b32_e64 v3, 0, 1, vcc
	v_lshl_or_b32 v3, v3, 9, v13
	v_cmp_eq_u32_e32 vcc, s10, v22
	v_cndmask_b32_e32 v3, v6, v3, vcc
	v_lshrrev_b32_e32 v4, 16, v4
	v_and_or_b32 v6, v4, s11, v3
	v_and_or_b32 v3, v21, s6, v20
	v_cmp_ne_u32_e32 vcc, 0, v3
	v_cndmask_b32_e64 v3, 0, 1, vcc
	v_lshrrev_b32_e32 v4, 8, v21
	v_bfe_u32 v8, v21, 20, 11
	v_and_or_b32 v3, v4, s7, v3
	v_sub_u32_e32 v20, 0x3f1, v8
	v_or_b32_e32 v4, 0x1000, v3
	v_med3_i32 v20, v20, 0, 13
	v_lshrrev_b32_e32 v22, v20, v4
	v_lshlrev_b32_e32 v20, v20, v22
	v_cmp_ne_u32_e32 vcc, v20, v4
	v_cndmask_b32_e64 v4, 0, 1, vcc
	v_add_u32_e32 v8, 0xfffffc10, v8
	v_or_b32_e32 v4, v22, v4
	v_lshl_or_b32 v20, v8, 12, v3
	v_cmp_gt_i32_e32 vcc, 1, v8
	v_cndmask_b32_e32 v4, v20, v4, vcc
	v_and_b32_e32 v20, 7, v4
	v_cmp_lt_i32_e32 vcc, 5, v20
	v_cmp_eq_u32_e64 s[0:1], 3, v20
	v_lshrrev_b32_e32 v20, 16, v10
	v_lshrrev_b32_e32 v4, 2, v4
	s_or_b64 vcc, s[0:1], vcc
	v_mul_f16_sdwa v22, v161, v20 dst_sel:DWORD dst_unused:UNUSED_PAD src0_sel:WORD_1 src1_sel:DWORD
	v_addc_co_u32_e32 v4, vcc, 0, v4, vcc
	v_fma_f16 v22, v161, v10, v22
	v_cmp_gt_i32_e32 vcc, 31, v8
	v_cvt_f32_f16_e32 v22, v22
	v_cndmask_b32_e32 v4, v13, v4, vcc
	v_cmp_ne_u32_e32 vcc, 0, v3
	v_cndmask_b32_e64 v3, 0, 1, vcc
	v_lshl_or_b32 v3, v3, 9, v13
	v_cmp_eq_u32_e32 vcc, s10, v8
	v_cndmask_b32_e32 v8, v4, v3, vcc
	v_cvt_f64_f32_e32 v[3:4], v22
	v_lshrrev_b32_e32 v21, 16, v21
	v_and_or_b32 v8, v21, s11, v8
	v_and_b32_e32 v6, 0xffff, v6
	v_mul_f64 v[3:4], v[3:4], s[4:5]
	v_lshl_or_b32 v6, v8, 16, v6
	v_mov_b32_e32 v8, s2
	v_add_co_u32_e32 v18, vcc, s3, v18
	v_addc_co_u32_e32 v19, vcc, v19, v8, vcc
	global_store_dword v[18:19], v6, off
	v_and_or_b32 v3, v4, s6, v3
	v_cmp_ne_u32_e32 vcc, 0, v3
	v_cndmask_b32_e64 v3, 0, 1, vcc
	v_lshrrev_b32_e32 v6, 8, v4
	v_bfe_u32 v8, v4, 20, 11
	v_and_or_b32 v3, v6, s7, v3
	v_sub_u32_e32 v21, 0x3f1, v8
	v_or_b32_e32 v6, 0x1000, v3
	v_med3_i32 v21, v21, 0, 13
	v_lshrrev_b32_e32 v22, v21, v6
	v_lshlrev_b32_e32 v21, v21, v22
	v_mul_f16_sdwa v10, v161, v10 dst_sel:DWORD dst_unused:UNUSED_PAD src0_sel:WORD_1 src1_sel:DWORD
	v_cmp_ne_u32_e32 vcc, v21, v6
	v_fma_f16 v10, v161, v20, -v10
	v_cndmask_b32_e64 v6, 0, 1, vcc
	v_add_u32_e32 v8, 0xfffffc10, v8
	v_cvt_f32_f16_e32 v10, v10
	v_or_b32_e32 v6, v22, v6
	v_lshl_or_b32 v21, v8, 12, v3
	v_cmp_gt_i32_e32 vcc, 1, v8
	v_cndmask_b32_e32 v6, v21, v6, vcc
	v_and_b32_e32 v21, 7, v6
	v_cmp_lt_i32_e32 vcc, 5, v21
	v_cmp_eq_u32_e64 s[0:1], 3, v21
	v_cvt_f64_f32_e32 v[20:21], v10
	v_lshrrev_b32_e32 v6, 2, v6
	s_or_b64 vcc, s[0:1], vcc
	v_addc_co_u32_e32 v6, vcc, 0, v6, vcc
	v_mul_f64 v[20:21], v[20:21], s[4:5]
	v_cmp_gt_i32_e32 vcc, 31, v8
	v_cndmask_b32_e32 v6, v13, v6, vcc
	v_cmp_ne_u32_e32 vcc, 0, v3
	v_cndmask_b32_e64 v3, 0, 1, vcc
	v_lshl_or_b32 v3, v3, 9, v13
	v_cmp_eq_u32_e32 vcc, s10, v8
	v_cndmask_b32_e32 v3, v6, v3, vcc
	v_lshrrev_b32_e32 v4, 16, v4
	v_and_or_b32 v6, v4, s11, v3
	v_and_or_b32 v3, v21, s6, v20
	v_cmp_ne_u32_e32 vcc, 0, v3
	v_cndmask_b32_e64 v3, 0, 1, vcc
	v_lshrrev_b32_e32 v4, 8, v21
	v_and_or_b32 v8, v4, s7, v3
	v_bfe_u32 v4, v21, 20, 11
	v_sub_u32_e32 v10, 0x3f1, v4
	v_or_b32_e32 v3, 0x1000, v8
	v_med3_i32 v10, v10, 0, 13
	v_lshrrev_b32_e32 v20, v10, v3
	v_lshlrev_b32_e32 v10, v10, v20
	v_cmp_ne_u32_e32 vcc, v10, v3
	v_cndmask_b32_e64 v3, 0, 1, vcc
	v_add_u32_e32 v10, 0xfffffc10, v4
	v_or_b32_e32 v3, v20, v3
	v_lshl_or_b32 v4, v10, 12, v8
	v_cmp_gt_i32_e32 vcc, 1, v10
	v_cndmask_b32_e32 v3, v4, v3, vcc
	v_and_b32_e32 v4, 7, v3
	v_cmp_lt_i32_e32 vcc, 5, v4
	v_cmp_eq_u32_e64 s[0:1], 3, v4
	v_lshrrev_b32_e32 v3, 2, v3
	s_or_b64 vcc, s[0:1], vcc
	v_addc_co_u32_e32 v20, vcc, 0, v3, vcc
	ds_read2_b32 v[3:4], v139 offset0:110 offset1:165
	v_cmp_gt_i32_e32 vcc, 31, v10
	v_cndmask_b32_e32 v20, v13, v20, vcc
	v_cmp_ne_u32_e32 vcc, 0, v8
	v_cndmask_b32_e64 v8, 0, 1, vcc
	s_waitcnt lgkmcnt(0)
	v_lshrrev_b32_e32 v24, 16, v3
	v_mul_f16_sdwa v22, v159, v24 dst_sel:DWORD dst_unused:UNUSED_PAD src0_sel:WORD_1 src1_sel:DWORD
	v_fma_f16 v22, v159, v3, v22
	v_cvt_f32_f16_e32 v22, v22
	v_lshl_or_b32 v8, v8, 9, v13
	v_cmp_eq_u32_e32 vcc, s10, v10
	v_cndmask_b32_e32 v8, v20, v8, vcc
	v_cvt_f64_f32_e32 v[22:23], v22
	v_lshrrev_b32_e32 v10, 16, v21
	v_and_or_b32 v8, v10, s11, v8
	v_and_b32_e32 v6, 0xffff, v6
	v_mul_f64 v[20:21], v[22:23], s[4:5]
	v_lshl_or_b32 v6, v8, 16, v6
	v_mov_b32_e32 v8, s2
	v_add_co_u32_e32 v18, vcc, s3, v18
	v_addc_co_u32_e32 v19, vcc, v19, v8, vcc
	global_store_dword v[18:19], v6, off
	v_and_or_b32 v6, v21, s6, v20
	v_cmp_ne_u32_e32 vcc, 0, v6
	v_cndmask_b32_e64 v6, 0, 1, vcc
	v_lshrrev_b32_e32 v8, 8, v21
	v_bfe_u32 v10, v21, 20, 11
	v_and_or_b32 v6, v8, s7, v6
	v_sub_u32_e32 v20, 0x3f1, v10
	v_mul_f16_sdwa v3, v159, v3 dst_sel:DWORD dst_unused:UNUSED_PAD src0_sel:WORD_1 src1_sel:DWORD
	v_or_b32_e32 v8, 0x1000, v6
	v_med3_i32 v20, v20, 0, 13
	v_fma_f16 v3, v159, v24, -v3
	v_lshrrev_b32_e32 v22, v20, v8
	v_cvt_f32_f16_e32 v3, v3
	v_lshlrev_b32_e32 v20, v20, v22
	v_cmp_ne_u32_e32 vcc, v20, v8
	v_cndmask_b32_e64 v8, 0, 1, vcc
	v_or_b32_e32 v8, v22, v8
	v_add_u32_e32 v10, 0xfffffc10, v10
	v_cvt_f64_f32_e32 v[22:23], v3
	v_lshl_or_b32 v20, v10, 12, v6
	v_cmp_gt_i32_e32 vcc, 1, v10
	v_cndmask_b32_e32 v8, v20, v8, vcc
	v_and_b32_e32 v20, 7, v8
	v_cmp_lt_i32_e32 vcc, 5, v20
	v_cmp_eq_u32_e64 s[0:1], 3, v20
	v_mul_f64 v[22:23], v[22:23], s[4:5]
	v_lshrrev_b32_e32 v8, 2, v8
	s_or_b64 vcc, s[0:1], vcc
	v_addc_co_u32_e32 v3, vcc, 0, v8, vcc
	v_cmp_gt_i32_e32 vcc, 31, v10
	v_cndmask_b32_e32 v3, v13, v3, vcc
	v_cmp_ne_u32_e32 vcc, 0, v6
	v_cndmask_b32_e64 v6, 0, 1, vcc
	v_lshl_or_b32 v6, v6, 9, v13
	v_cmp_eq_u32_e32 vcc, s10, v10
	v_cndmask_b32_e32 v3, v3, v6, vcc
	v_lshrrev_b32_e32 v6, 16, v21
	v_and_or_b32 v3, v6, s11, v3
	v_and_or_b32 v6, v23, s6, v22
	v_cmp_ne_u32_e32 vcc, 0, v6
	v_cndmask_b32_e64 v6, 0, 1, vcc
	v_lshrrev_b32_e32 v8, 8, v23
	v_bfe_u32 v10, v23, 20, 11
	v_and_or_b32 v6, v8, s7, v6
	v_sub_u32_e32 v20, 0x3f1, v10
	v_or_b32_e32 v8, 0x1000, v6
	v_med3_i32 v20, v20, 0, 13
	v_lshrrev_b32_e32 v21, v20, v8
	v_lshlrev_b32_e32 v20, v20, v21
	v_cmp_ne_u32_e32 vcc, v20, v8
	v_cndmask_b32_e64 v8, 0, 1, vcc
	v_add_u32_e32 v10, 0xfffffc10, v10
	v_or_b32_e32 v8, v21, v8
	v_lshl_or_b32 v20, v10, 12, v6
	v_cmp_gt_i32_e32 vcc, 1, v10
	v_cndmask_b32_e32 v8, v20, v8, vcc
	v_and_b32_e32 v20, 7, v8
	v_lshrrev_b32_e32 v22, 16, v5
	v_cmp_lt_i32_e32 vcc, 5, v20
	v_cmp_eq_u32_e64 s[0:1], 3, v20
	v_mul_f16_sdwa v20, v157, v22 dst_sel:DWORD dst_unused:UNUSED_PAD src0_sel:WORD_1 src1_sel:DWORD
	v_fma_f16 v20, v157, v5, v20
	v_cvt_f32_f16_e32 v20, v20
	v_lshrrev_b32_e32 v8, 2, v8
	s_or_b64 vcc, s[0:1], vcc
	v_addc_co_u32_e32 v8, vcc, 0, v8, vcc
	v_cvt_f64_f32_e32 v[20:21], v20
	v_cmp_gt_i32_e32 vcc, 31, v10
	v_cndmask_b32_e32 v8, v13, v8, vcc
	v_cmp_ne_u32_e32 vcc, 0, v6
	v_mul_f64 v[20:21], v[20:21], s[4:5]
	v_cndmask_b32_e64 v6, 0, 1, vcc
	v_lshl_or_b32 v6, v6, 9, v13
	v_cmp_eq_u32_e32 vcc, s10, v10
	v_cndmask_b32_e32 v6, v8, v6, vcc
	v_lshrrev_b32_e32 v8, 16, v23
	v_and_or_b32 v6, v8, s11, v6
	v_and_b32_e32 v3, 0xffff, v3
	v_lshl_or_b32 v3, v6, 16, v3
	v_mov_b32_e32 v6, s9
	v_add_co_u32_e32 v18, vcc, s8, v18
	v_addc_co_u32_e32 v19, vcc, v19, v6, vcc
	global_store_dword v[18:19], v3, off
	v_and_or_b32 v3, v21, s6, v20
	v_cmp_ne_u32_e32 vcc, 0, v3
	v_cndmask_b32_e64 v3, 0, 1, vcc
	v_lshrrev_b32_e32 v6, 8, v21
	v_bfe_u32 v8, v21, 20, 11
	v_and_or_b32 v3, v6, s7, v3
	v_sub_u32_e32 v10, 0x3f1, v8
	v_or_b32_e32 v6, 0x1000, v3
	v_med3_i32 v10, v10, 0, 13
	v_lshrrev_b32_e32 v20, v10, v6
	v_lshlrev_b32_e32 v10, v10, v20
	v_mul_f16_sdwa v5, v157, v5 dst_sel:DWORD dst_unused:UNUSED_PAD src0_sel:WORD_1 src1_sel:DWORD
	v_cmp_ne_u32_e32 vcc, v10, v6
	v_fma_f16 v5, v157, v22, -v5
	v_cndmask_b32_e64 v6, 0, 1, vcc
	v_add_u32_e32 v8, 0xfffffc10, v8
	v_cvt_f32_f16_e32 v5, v5
	v_or_b32_e32 v6, v20, v6
	v_lshl_or_b32 v10, v8, 12, v3
	v_cmp_gt_i32_e32 vcc, 1, v8
	v_cndmask_b32_e32 v6, v10, v6, vcc
	v_and_b32_e32 v10, 7, v6
	v_cmp_lt_i32_e32 vcc, 5, v10
	v_cmp_eq_u32_e64 s[0:1], 3, v10
	v_lshrrev_b32_e32 v10, 2, v6
	v_cvt_f64_f32_e32 v[5:6], v5
	s_or_b64 vcc, s[0:1], vcc
	v_addc_co_u32_e32 v10, vcc, 0, v10, vcc
	v_mul_f64 v[22:23], v[5:6], s[4:5]
	v_cmp_gt_i32_e32 vcc, 31, v8
	v_cndmask_b32_e32 v10, v13, v10, vcc
	v_cmp_ne_u32_e32 vcc, 0, v3
	v_cndmask_b32_e64 v3, 0, 1, vcc
	v_lshl_or_b32 v3, v3, 9, v13
	v_cmp_eq_u32_e32 vcc, s10, v8
	v_cndmask_b32_e32 v3, v10, v3, vcc
	v_lshrrev_b32_e32 v5, 16, v21
	v_and_or_b32 v3, v5, s11, v3
	v_and_or_b32 v5, v23, s6, v22
	v_cmp_ne_u32_e32 vcc, 0, v5
	v_cndmask_b32_e64 v5, 0, 1, vcc
	v_lshrrev_b32_e32 v6, 8, v23
	v_and_or_b32 v8, v6, s7, v5
	v_bfe_u32 v6, v23, 20, 11
	v_sub_u32_e32 v10, 0x3f1, v6
	v_or_b32_e32 v5, 0x1000, v8
	v_med3_i32 v10, v10, 0, 13
	v_lshrrev_b32_e32 v20, v10, v5
	v_lshlrev_b32_e32 v10, v10, v20
	v_cmp_ne_u32_e32 vcc, v10, v5
	v_cndmask_b32_e64 v5, 0, 1, vcc
	v_add_u32_e32 v10, 0xfffffc10, v6
	v_or_b32_e32 v5, v20, v5
	v_lshl_or_b32 v6, v10, 12, v8
	v_cmp_gt_i32_e32 vcc, 1, v10
	v_cndmask_b32_e32 v5, v6, v5, vcc
	v_and_b32_e32 v6, 7, v5
	v_cmp_lt_i32_e32 vcc, 5, v6
	v_cmp_eq_u32_e64 s[0:1], 3, v6
	v_lshrrev_b32_e32 v5, 2, v5
	s_or_b64 vcc, s[0:1], vcc
	v_addc_co_u32_e32 v20, vcc, 0, v5, vcc
	ds_read2_b32 v[5:6], v17 offset0:148 offset1:203
	v_cmp_gt_i32_e32 vcc, 31, v10
	v_cndmask_b32_e32 v17, v13, v20, vcc
	v_cmp_ne_u32_e32 vcc, 0, v8
	v_cndmask_b32_e64 v8, 0, 1, vcc
	s_waitcnt lgkmcnt(0)
	v_lshrrev_b32_e32 v22, 16, v5
	v_mul_f16_sdwa v20, v158, v22 dst_sel:DWORD dst_unused:UNUSED_PAD src0_sel:WORD_1 src1_sel:DWORD
	v_fma_f16 v20, v158, v5, v20
	v_cvt_f32_f16_e32 v20, v20
	v_lshl_or_b32 v8, v8, 9, v13
	v_cmp_eq_u32_e32 vcc, s10, v10
	v_cndmask_b32_e32 v8, v17, v8, vcc
	v_cvt_f64_f32_e32 v[20:21], v20
	v_lshrrev_b32_e32 v10, 16, v23
	v_and_or_b32 v8, v10, s11, v8
	v_and_b32_e32 v3, 0xffff, v3
	v_mul_f64 v[20:21], v[20:21], s[4:5]
	v_lshl_or_b32 v3, v8, 16, v3
	v_mov_b32_e32 v8, s2
	v_add_co_u32_e32 v17, vcc, s3, v18
	v_addc_co_u32_e32 v18, vcc, v19, v8, vcc
	global_store_dword v[17:18], v3, off
	v_and_or_b32 v3, v21, s6, v20
	v_cmp_ne_u32_e32 vcc, 0, v3
	v_cndmask_b32_e64 v3, 0, 1, vcc
	v_lshrrev_b32_e32 v8, 8, v21
	v_bfe_u32 v10, v21, 20, 11
	v_and_or_b32 v3, v8, s7, v3
	v_sub_u32_e32 v19, 0x3f1, v10
	v_or_b32_e32 v8, 0x1000, v3
	v_med3_i32 v19, v19, 0, 13
	v_lshrrev_b32_e32 v20, v19, v8
	v_lshlrev_b32_e32 v19, v19, v20
	v_mul_f16_sdwa v5, v158, v5 dst_sel:DWORD dst_unused:UNUSED_PAD src0_sel:WORD_1 src1_sel:DWORD
	v_cmp_ne_u32_e32 vcc, v19, v8
	v_fma_f16 v5, v158, v22, -v5
	v_cndmask_b32_e64 v8, 0, 1, vcc
	v_add_u32_e32 v10, 0xfffffc10, v10
	v_cvt_f32_f16_e32 v5, v5
	v_or_b32_e32 v8, v20, v8
	v_lshl_or_b32 v19, v10, 12, v3
	v_cmp_gt_i32_e32 vcc, 1, v10
	v_cndmask_b32_e32 v8, v19, v8, vcc
	v_and_b32_e32 v19, 7, v8
	v_cmp_lt_i32_e32 vcc, 5, v19
	v_cmp_eq_u32_e64 s[0:1], 3, v19
	v_cvt_f64_f32_e32 v[19:20], v5
	v_lshrrev_b32_e32 v8, 2, v8
	s_or_b64 vcc, s[0:1], vcc
	v_addc_co_u32_e32 v5, vcc, 0, v8, vcc
	v_mul_f64 v[19:20], v[19:20], s[4:5]
	v_cmp_gt_i32_e32 vcc, 31, v10
	v_cndmask_b32_e32 v5, v13, v5, vcc
	v_cmp_ne_u32_e32 vcc, 0, v3
	v_cndmask_b32_e64 v3, 0, 1, vcc
	v_lshl_or_b32 v3, v3, 9, v13
	v_cmp_eq_u32_e32 vcc, s10, v10
	v_cndmask_b32_e32 v3, v5, v3, vcc
	v_lshrrev_b32_e32 v5, 16, v21
	v_and_or_b32 v3, v5, s11, v3
	v_and_or_b32 v5, v20, s6, v19
	v_cmp_ne_u32_e32 vcc, 0, v5
	v_cndmask_b32_e64 v5, 0, 1, vcc
	v_lshrrev_b32_e32 v8, 8, v20
	v_bfe_u32 v10, v20, 20, 11
	v_and_or_b32 v5, v8, s7, v5
	v_sub_u32_e32 v19, 0x3f1, v10
	v_or_b32_e32 v8, 0x1000, v5
	v_med3_i32 v19, v19, 0, 13
	v_lshrrev_b32_e32 v21, v19, v8
	v_lshlrev_b32_e32 v19, v19, v21
	v_cmp_ne_u32_e32 vcc, v19, v8
	v_cndmask_b32_e64 v8, 0, 1, vcc
	v_add_u32_e32 v10, 0xfffffc10, v10
	v_or_b32_e32 v8, v21, v8
	v_lshl_or_b32 v19, v10, 12, v5
	v_cmp_gt_i32_e32 vcc, 1, v10
	v_cndmask_b32_e32 v8, v19, v8, vcc
	v_and_b32_e32 v19, 7, v8
	v_lshrrev_b32_e32 v23, 16, v7
	v_cmp_lt_i32_e32 vcc, 5, v19
	v_cmp_eq_u32_e64 s[0:1], 3, v19
	v_mul_f16_sdwa v19, v160, v23 dst_sel:DWORD dst_unused:UNUSED_PAD src0_sel:WORD_1 src1_sel:DWORD
	v_fma_f16 v19, v160, v7, v19
	v_cvt_f32_f16_e32 v19, v19
	v_lshrrev_b32_e32 v8, 2, v8
	s_or_b64 vcc, s[0:1], vcc
	v_addc_co_u32_e32 v8, vcc, 0, v8, vcc
	v_cmp_gt_i32_e32 vcc, 31, v10
	v_cvt_f64_f32_e32 v[21:22], v19
	v_cndmask_b32_e32 v8, v13, v8, vcc
	v_cmp_ne_u32_e32 vcc, 0, v5
	v_cndmask_b32_e64 v5, 0, 1, vcc
	v_lshl_or_b32 v5, v5, 9, v13
	v_cmp_eq_u32_e32 vcc, s10, v10
	v_cndmask_b32_e32 v5, v8, v5, vcc
	v_lshrrev_b32_e32 v8, 16, v20
	v_mul_f64 v[19:20], v[21:22], s[4:5]
	v_and_or_b32 v5, v8, s11, v5
	v_and_b32_e32 v3, 0xffff, v3
	v_lshl_or_b32 v3, v5, 16, v3
	v_mov_b32_e32 v5, s2
	v_add_co_u32_e32 v17, vcc, s3, v17
	v_addc_co_u32_e32 v18, vcc, v18, v5, vcc
	global_store_dword v[17:18], v3, off
	v_and_or_b32 v3, v20, s6, v19
	v_cmp_ne_u32_e32 vcc, 0, v3
	v_cndmask_b32_e64 v3, 0, 1, vcc
	v_lshrrev_b32_e32 v5, 8, v20
	v_bfe_u32 v8, v20, 20, 11
	v_and_or_b32 v3, v5, s7, v3
	v_sub_u32_e32 v10, 0x3f1, v8
	v_or_b32_e32 v5, 0x1000, v3
	v_med3_i32 v10, v10, 0, 13
	v_lshrrev_b32_e32 v19, v10, v5
	v_lshlrev_b32_e32 v10, v10, v19
	v_mul_f16_sdwa v7, v160, v7 dst_sel:DWORD dst_unused:UNUSED_PAD src0_sel:WORD_1 src1_sel:DWORD
	v_cmp_ne_u32_e32 vcc, v10, v5
	v_fma_f16 v7, v160, v23, -v7
	v_cndmask_b32_e64 v5, 0, 1, vcc
	v_add_u32_e32 v10, 0xfffffc10, v8
	v_cvt_f32_f16_e32 v7, v7
	v_or_b32_e32 v5, v19, v5
	v_lshl_or_b32 v8, v10, 12, v3
	v_cmp_gt_i32_e32 vcc, 1, v10
	v_cndmask_b32_e32 v5, v8, v5, vcc
	v_and_b32_e32 v8, 7, v5
	v_cmp_lt_i32_e32 vcc, 5, v8
	v_cmp_eq_u32_e64 s[0:1], 3, v8
	v_cvt_f64_f32_e32 v[7:8], v7
	v_lshrrev_b32_e32 v5, 2, v5
	s_or_b64 vcc, s[0:1], vcc
	v_addc_co_u32_e32 v5, vcc, 0, v5, vcc
	v_mul_f64 v[21:22], v[7:8], s[4:5]
	v_cmp_gt_i32_e32 vcc, 31, v10
	v_cndmask_b32_e32 v5, v13, v5, vcc
	v_cmp_ne_u32_e32 vcc, 0, v3
	v_cndmask_b32_e64 v3, 0, 1, vcc
	v_lshl_or_b32 v3, v3, 9, v13
	v_cmp_eq_u32_e32 vcc, s10, v10
	v_cndmask_b32_e32 v3, v5, v3, vcc
	v_lshrrev_b32_e32 v5, 16, v20
	v_and_or_b32 v3, v5, s11, v3
	v_and_or_b32 v5, v22, s6, v21
	v_cmp_ne_u32_e32 vcc, 0, v5
	v_cndmask_b32_e64 v5, 0, 1, vcc
	v_lshrrev_b32_e32 v7, 8, v22
	v_bfe_u32 v8, v22, 20, 11
	v_and_or_b32 v5, v7, s7, v5
	v_sub_u32_e32 v10, 0x3f1, v8
	v_or_b32_e32 v7, 0x1000, v5
	v_med3_i32 v10, v10, 0, 13
	v_lshrrev_b32_e32 v19, v10, v7
	v_lshlrev_b32_e32 v10, v10, v19
	v_cmp_ne_u32_e32 vcc, v10, v7
	v_cndmask_b32_e64 v7, 0, 1, vcc
	v_add_u32_e32 v10, 0xfffffc10, v8
	v_or_b32_e32 v7, v19, v7
	v_lshl_or_b32 v8, v10, 12, v5
	v_cmp_gt_i32_e32 vcc, 1, v10
	v_cndmask_b32_e32 v7, v8, v7, vcc
	v_and_b32_e32 v8, 7, v7
	v_cmp_lt_i32_e32 vcc, 5, v8
	v_cmp_eq_u32_e64 s[0:1], 3, v8
	v_lshrrev_b32_e32 v7, 2, v7
	s_or_b64 vcc, s[0:1], vcc
	v_addc_co_u32_e32 v19, vcc, 0, v7, vcc
	ds_read2_b32 v[7:8], v16 offset0:186 offset1:241
	v_cmp_gt_i32_e32 vcc, 31, v10
	v_cndmask_b32_e32 v16, v13, v19, vcc
	v_cmp_ne_u32_e32 vcc, 0, v5
	v_cndmask_b32_e64 v5, 0, 1, vcc
	s_waitcnt lgkmcnt(0)
	v_lshrrev_b32_e32 v21, 16, v7
	v_mul_f16_sdwa v19, v156, v21 dst_sel:DWORD dst_unused:UNUSED_PAD src0_sel:WORD_1 src1_sel:DWORD
	v_fma_f16 v19, v156, v7, v19
	v_cvt_f32_f16_e32 v19, v19
	v_lshl_or_b32 v5, v5, 9, v13
	v_cmp_eq_u32_e32 vcc, s10, v10
	v_cndmask_b32_e32 v5, v16, v5, vcc
	v_cvt_f64_f32_e32 v[19:20], v19
	v_lshrrev_b32_e32 v10, 16, v22
	v_and_or_b32 v5, v10, s11, v5
	v_and_b32_e32 v3, 0xffff, v3
	v_mul_f64 v[19:20], v[19:20], s[4:5]
	v_lshl_or_b32 v3, v5, 16, v3
	v_mov_b32_e32 v5, s2
	v_add_co_u32_e32 v16, vcc, s3, v17
	v_addc_co_u32_e32 v17, vcc, v18, v5, vcc
	global_store_dword v[16:17], v3, off
	v_and_or_b32 v3, v20, s6, v19
	v_cmp_ne_u32_e32 vcc, 0, v3
	v_cndmask_b32_e64 v3, 0, 1, vcc
	v_lshrrev_b32_e32 v5, 8, v20
	v_bfe_u32 v10, v20, 20, 11
	v_and_or_b32 v3, v5, s7, v3
	v_sub_u32_e32 v18, 0x3f1, v10
	v_or_b32_e32 v5, 0x1000, v3
	v_med3_i32 v18, v18, 0, 13
	v_lshrrev_b32_e32 v19, v18, v5
	v_lshlrev_b32_e32 v18, v18, v19
	v_mul_f16_sdwa v7, v156, v7 dst_sel:DWORD dst_unused:UNUSED_PAD src0_sel:WORD_1 src1_sel:DWORD
	v_cmp_ne_u32_e32 vcc, v18, v5
	v_fma_f16 v7, v156, v21, -v7
	v_cndmask_b32_e64 v5, 0, 1, vcc
	v_add_u32_e32 v10, 0xfffffc10, v10
	v_cvt_f32_f16_e32 v7, v7
	v_or_b32_e32 v5, v19, v5
	v_lshl_or_b32 v18, v10, 12, v3
	v_cmp_gt_i32_e32 vcc, 1, v10
	v_cndmask_b32_e32 v5, v18, v5, vcc
	v_and_b32_e32 v18, 7, v5
	v_cmp_lt_i32_e32 vcc, 5, v18
	v_cmp_eq_u32_e64 s[0:1], 3, v18
	v_cvt_f64_f32_e32 v[18:19], v7
	v_lshrrev_b32_e32 v5, 2, v5
	s_or_b64 vcc, s[0:1], vcc
	v_addc_co_u32_e32 v5, vcc, 0, v5, vcc
	v_mul_f64 v[18:19], v[18:19], s[4:5]
	v_cmp_gt_i32_e32 vcc, 31, v10
	v_cndmask_b32_e32 v5, v13, v5, vcc
	v_cmp_ne_u32_e32 vcc, 0, v3
	v_cndmask_b32_e64 v3, 0, 1, vcc
	v_lshl_or_b32 v3, v3, 9, v13
	v_cmp_eq_u32_e32 vcc, s10, v10
	v_cndmask_b32_e32 v3, v5, v3, vcc
	v_lshrrev_b32_e32 v5, 16, v20
	v_and_or_b32 v3, v5, s11, v3
	v_and_or_b32 v5, v19, s6, v18
	v_cmp_ne_u32_e32 vcc, 0, v5
	v_cndmask_b32_e64 v5, 0, 1, vcc
	v_lshrrev_b32_e32 v7, 8, v19
	v_bfe_u32 v10, v19, 20, 11
	v_and_or_b32 v5, v7, s7, v5
	v_sub_u32_e32 v18, 0x3f1, v10
	v_or_b32_e32 v7, 0x1000, v5
	v_med3_i32 v18, v18, 0, 13
	v_lshrrev_b32_e32 v20, v18, v7
	v_lshlrev_b32_e32 v18, v18, v20
	v_cmp_ne_u32_e32 vcc, v18, v7
	v_cndmask_b32_e64 v7, 0, 1, vcc
	v_add_u32_e32 v10, 0xfffffc10, v10
	v_or_b32_e32 v7, v20, v7
	v_lshl_or_b32 v18, v10, 12, v5
	v_cmp_gt_i32_e32 vcc, 1, v10
	v_cndmask_b32_e32 v7, v18, v7, vcc
	v_and_b32_e32 v18, 7, v7
	v_lshrrev_b32_e32 v22, 16, v9
	v_cmp_lt_i32_e32 vcc, 5, v18
	v_cmp_eq_u32_e64 s[0:1], 3, v18
	v_mul_f16_sdwa v18, v155, v22 dst_sel:DWORD dst_unused:UNUSED_PAD src0_sel:WORD_1 src1_sel:DWORD
	v_fma_f16 v18, v155, v9, v18
	v_cvt_f32_f16_e32 v18, v18
	v_lshrrev_b32_e32 v7, 2, v7
	s_or_b64 vcc, s[0:1], vcc
	v_addc_co_u32_e32 v7, vcc, 0, v7, vcc
	v_cmp_gt_i32_e32 vcc, 31, v10
	v_cvt_f64_f32_e32 v[20:21], v18
	v_cndmask_b32_e32 v7, v13, v7, vcc
	v_cmp_ne_u32_e32 vcc, 0, v5
	v_cndmask_b32_e64 v5, 0, 1, vcc
	v_lshl_or_b32 v5, v5, 9, v13
	v_cmp_eq_u32_e32 vcc, s10, v10
	v_cndmask_b32_e32 v5, v7, v5, vcc
	v_lshrrev_b32_e32 v7, 16, v19
	v_mul_f64 v[18:19], v[20:21], s[4:5]
	v_and_or_b32 v5, v7, s11, v5
	v_and_b32_e32 v3, 0xffff, v3
	v_lshl_or_b32 v3, v5, 16, v3
	v_mov_b32_e32 v5, s2
	v_add_co_u32_e32 v16, vcc, s3, v16
	v_addc_co_u32_e32 v17, vcc, v17, v5, vcc
	global_store_dword v[16:17], v3, off
	v_and_or_b32 v3, v19, s6, v18
	v_cmp_ne_u32_e32 vcc, 0, v3
	v_cndmask_b32_e64 v3, 0, 1, vcc
	v_lshrrev_b32_e32 v5, 8, v19
	v_bfe_u32 v7, v19, 20, 11
	v_and_or_b32 v3, v5, s7, v3
	v_sub_u32_e32 v10, 0x3f1, v7
	v_or_b32_e32 v5, 0x1000, v3
	v_med3_i32 v10, v10, 0, 13
	v_lshrrev_b32_e32 v18, v10, v5
	v_lshlrev_b32_e32 v10, v10, v18
	v_mul_f16_sdwa v9, v155, v9 dst_sel:DWORD dst_unused:UNUSED_PAD src0_sel:WORD_1 src1_sel:DWORD
	v_cmp_ne_u32_e32 vcc, v10, v5
	v_fma_f16 v9, v155, v22, -v9
	v_cndmask_b32_e64 v5, 0, 1, vcc
	v_add_u32_e32 v7, 0xfffffc10, v7
	v_cvt_f32_f16_e32 v9, v9
	v_or_b32_e32 v5, v18, v5
	v_lshl_or_b32 v10, v7, 12, v3
	v_cmp_gt_i32_e32 vcc, 1, v7
	v_cndmask_b32_e32 v5, v10, v5, vcc
	v_and_b32_e32 v10, 7, v5
	v_cmp_lt_i32_e32 vcc, 5, v10
	v_cmp_eq_u32_e64 s[0:1], 3, v10
	v_cvt_f64_f32_e32 v[9:10], v9
	v_lshrrev_b32_e32 v5, 2, v5
	s_or_b64 vcc, s[0:1], vcc
	v_addc_co_u32_e32 v5, vcc, 0, v5, vcc
	v_mul_f64 v[20:21], v[9:10], s[4:5]
	v_cmp_gt_i32_e32 vcc, 31, v7
	v_cndmask_b32_e32 v5, v13, v5, vcc
	v_cmp_ne_u32_e32 vcc, 0, v3
	v_cndmask_b32_e64 v3, 0, 1, vcc
	v_lshl_or_b32 v3, v3, 9, v13
	v_cmp_eq_u32_e32 vcc, s10, v7
	v_cndmask_b32_e32 v3, v5, v3, vcc
	v_lshrrev_b32_e32 v5, 16, v19
	v_and_or_b32 v3, v5, s11, v3
	v_and_or_b32 v5, v21, s6, v20
	v_cmp_ne_u32_e32 vcc, 0, v5
	v_cndmask_b32_e64 v5, 0, 1, vcc
	v_lshrrev_b32_e32 v7, 8, v21
	v_bfe_u32 v9, v21, 20, 11
	v_and_or_b32 v5, v7, s7, v5
	v_sub_u32_e32 v10, 0x3f1, v9
	v_or_b32_e32 v7, 0x1000, v5
	v_med3_i32 v10, v10, 0, 13
	v_lshrrev_b32_e32 v18, v10, v7
	v_lshlrev_b32_e32 v10, v10, v18
	v_cmp_ne_u32_e32 vcc, v10, v7
	v_cndmask_b32_e64 v7, 0, 1, vcc
	v_or_b32_e32 v7, v18, v7
	v_add_u32_e32 v18, 0xfffffc10, v9
	v_lshl_or_b32 v9, v18, 12, v5
	v_cmp_gt_i32_e32 vcc, 1, v18
	v_cndmask_b32_e32 v7, v9, v7, vcc
	v_and_b32_e32 v9, 7, v7
	v_cmp_lt_i32_e32 vcc, 5, v9
	v_cmp_eq_u32_e64 s[0:1], 3, v9
	ds_read2_b32 v[9:10], v15 offset0:96 offset1:151
	v_lshrrev_b32_e32 v7, 2, v7
	s_or_b64 vcc, s[0:1], vcc
	v_addc_co_u32_e32 v7, vcc, 0, v7, vcc
	s_waitcnt lgkmcnt(0)
	v_lshrrev_b32_e32 v20, 16, v9
	v_mul_f16_sdwa v15, v154, v20 dst_sel:DWORD dst_unused:UNUSED_PAD src0_sel:WORD_1 src1_sel:DWORD
	v_fma_f16 v15, v154, v9, v15
	v_cvt_f32_f16_e32 v15, v15
	v_cmp_gt_i32_e32 vcc, 31, v18
	v_cndmask_b32_e32 v7, v13, v7, vcc
	v_cmp_ne_u32_e32 vcc, 0, v5
	v_cndmask_b32_e64 v5, 0, 1, vcc
	v_cmp_eq_u32_e32 vcc, s10, v18
	v_cvt_f64_f32_e32 v[18:19], v15
	v_lshl_or_b32 v5, v5, 9, v13
	v_cndmask_b32_e32 v5, v7, v5, vcc
	v_lshrrev_b32_e32 v7, 16, v21
	v_mul_f64 v[18:19], v[18:19], s[4:5]
	v_and_or_b32 v5, v7, s11, v5
	v_and_b32_e32 v3, 0xffff, v3
	v_lshl_or_b32 v3, v5, 16, v3
	v_mov_b32_e32 v5, s2
	v_add_co_u32_e32 v15, vcc, s3, v16
	v_addc_co_u32_e32 v16, vcc, v17, v5, vcc
	global_store_dword v[15:16], v3, off
	v_and_or_b32 v3, v19, s6, v18
	v_cmp_ne_u32_e32 vcc, 0, v3
	v_cndmask_b32_e64 v3, 0, 1, vcc
	v_lshrrev_b32_e32 v5, 8, v19
	v_bfe_u32 v7, v19, 20, 11
	v_and_or_b32 v3, v5, s7, v3
	v_sub_u32_e32 v17, 0x3f1, v7
	v_or_b32_e32 v5, 0x1000, v3
	v_med3_i32 v17, v17, 0, 13
	v_lshrrev_b32_e32 v18, v17, v5
	v_lshlrev_b32_e32 v17, v17, v18
	v_mul_f16_sdwa v9, v154, v9 dst_sel:DWORD dst_unused:UNUSED_PAD src0_sel:WORD_1 src1_sel:DWORD
	v_cmp_ne_u32_e32 vcc, v17, v5
	v_fma_f16 v9, v154, v20, -v9
	v_cndmask_b32_e64 v5, 0, 1, vcc
	v_add_u32_e32 v7, 0xfffffc10, v7
	v_cvt_f32_f16_e32 v9, v9
	v_or_b32_e32 v5, v18, v5
	v_lshl_or_b32 v17, v7, 12, v3
	v_cmp_gt_i32_e32 vcc, 1, v7
	v_cndmask_b32_e32 v5, v17, v5, vcc
	v_and_b32_e32 v17, 7, v5
	v_cmp_lt_i32_e32 vcc, 5, v17
	v_cmp_eq_u32_e64 s[0:1], 3, v17
	v_cvt_f64_f32_e32 v[17:18], v9
	v_lshrrev_b32_e32 v5, 2, v5
	s_or_b64 vcc, s[0:1], vcc
	v_addc_co_u32_e32 v5, vcc, 0, v5, vcc
	v_mul_f64 v[17:18], v[17:18], s[4:5]
	v_cmp_gt_i32_e32 vcc, 31, v7
	v_cndmask_b32_e32 v5, v13, v5, vcc
	v_cmp_ne_u32_e32 vcc, 0, v3
	v_cndmask_b32_e64 v3, 0, 1, vcc
	v_lshl_or_b32 v3, v3, 9, v13
	v_cmp_eq_u32_e32 vcc, s10, v7
	v_cndmask_b32_e32 v3, v5, v3, vcc
	v_lshrrev_b32_e32 v5, 16, v19
	v_and_or_b32 v3, v5, s11, v3
	v_and_or_b32 v5, v18, s6, v17
	v_cmp_ne_u32_e32 vcc, 0, v5
	v_cndmask_b32_e64 v5, 0, 1, vcc
	v_lshrrev_b32_e32 v7, 8, v18
	v_bfe_u32 v9, v18, 20, 11
	v_and_or_b32 v5, v7, s7, v5
	v_sub_u32_e32 v17, 0x3f1, v9
	v_or_b32_e32 v7, 0x1000, v5
	v_med3_i32 v17, v17, 0, 13
	v_lshrrev_b32_e32 v19, v17, v7
	v_lshlrev_b32_e32 v17, v17, v19
	v_cmp_ne_u32_e32 vcc, v17, v7
	v_cndmask_b32_e64 v7, 0, 1, vcc
	v_add_u32_e32 v9, 0xfffffc10, v9
	v_or_b32_e32 v7, v19, v7
	v_lshl_or_b32 v17, v9, 12, v5
	v_cmp_gt_i32_e32 vcc, 1, v9
	v_cndmask_b32_e32 v7, v17, v7, vcc
	v_and_b32_e32 v17, 7, v7
	v_lshrrev_b32_e32 v21, 16, v4
	v_cmp_lt_i32_e32 vcc, 5, v17
	v_cmp_eq_u32_e64 s[0:1], 3, v17
	v_mul_f16_sdwa v17, v152, v21 dst_sel:DWORD dst_unused:UNUSED_PAD src0_sel:WORD_1 src1_sel:DWORD
	v_fma_f16 v17, v152, v4, v17
	v_cvt_f32_f16_e32 v17, v17
	v_lshrrev_b32_e32 v7, 2, v7
	s_or_b64 vcc, s[0:1], vcc
	v_addc_co_u32_e32 v7, vcc, 0, v7, vcc
	v_cmp_gt_i32_e32 vcc, 31, v9
	v_cvt_f64_f32_e32 v[19:20], v17
	v_cndmask_b32_e32 v7, v13, v7, vcc
	v_cmp_ne_u32_e32 vcc, 0, v5
	v_cndmask_b32_e64 v5, 0, 1, vcc
	v_lshl_or_b32 v5, v5, 9, v13
	v_cmp_eq_u32_e32 vcc, s10, v9
	v_cndmask_b32_e32 v5, v7, v5, vcc
	v_lshrrev_b32_e32 v7, 16, v18
	v_mul_f64 v[17:18], v[19:20], s[4:5]
	v_and_or_b32 v5, v7, s11, v5
	v_and_b32_e32 v3, 0xffff, v3
	v_lshl_or_b32 v3, v5, 16, v3
	v_mov_b32_e32 v5, s2
	v_add_co_u32_e32 v15, vcc, s3, v15
	v_addc_co_u32_e32 v16, vcc, v16, v5, vcc
	global_store_dword v[15:16], v3, off
	v_and_or_b32 v3, v18, s6, v17
	v_cmp_ne_u32_e32 vcc, 0, v3
	v_cndmask_b32_e64 v3, 0, 1, vcc
	v_lshrrev_b32_e32 v5, 8, v18
	v_and_or_b32 v7, v5, s7, v3
	v_bfe_u32 v5, v18, 20, 11
	v_sub_u32_e32 v9, 0x3f1, v5
	v_or_b32_e32 v3, 0x1000, v7
	v_med3_i32 v9, v9, 0, 13
	v_lshrrev_b32_e32 v17, v9, v3
	v_lshlrev_b32_e32 v9, v9, v17
	v_mul_f16_sdwa v4, v152, v4 dst_sel:DWORD dst_unused:UNUSED_PAD src0_sel:WORD_1 src1_sel:DWORD
	v_cmp_ne_u32_e32 vcc, v9, v3
	v_fma_f16 v4, v152, v21, -v4
	v_cndmask_b32_e64 v3, 0, 1, vcc
	v_add_u32_e32 v9, 0xfffffc10, v5
	v_cvt_f32_f16_e32 v4, v4
	v_or_b32_e32 v3, v17, v3
	v_lshl_or_b32 v5, v9, 12, v7
	v_cmp_gt_i32_e32 vcc, 1, v9
	v_cndmask_b32_e32 v3, v5, v3, vcc
	v_and_b32_e32 v5, 7, v3
	v_cmp_lt_i32_e32 vcc, 5, v5
	v_cmp_eq_u32_e64 s[0:1], 3, v5
	v_lshrrev_b32_e32 v5, 2, v3
	v_cvt_f64_f32_e32 v[3:4], v4
	s_or_b64 vcc, s[0:1], vcc
	v_addc_co_u32_e32 v5, vcc, 0, v5, vcc
	v_cmp_gt_i32_e32 vcc, 31, v9
	v_cndmask_b32_e32 v17, v13, v5, vcc
	v_mul_f64 v[4:5], v[3:4], s[4:5]
	v_cmp_ne_u32_e32 vcc, 0, v7
	v_cndmask_b32_e64 v3, 0, 1, vcc
	v_lshl_or_b32 v3, v3, 9, v13
	v_cmp_eq_u32_e32 vcc, s10, v9
	v_cndmask_b32_e32 v3, v17, v3, vcc
	v_lshrrev_b32_e32 v7, 16, v18
	v_and_or_b32 v7, v7, s11, v3
	v_and_or_b32 v3, v5, s6, v4
	v_cmp_ne_u32_e32 vcc, 0, v3
	v_cndmask_b32_e64 v3, 0, 1, vcc
	v_lshrrev_b32_e32 v4, 8, v5
	v_and_or_b32 v9, v4, s7, v3
	v_bfe_u32 v4, v5, 20, 11
	v_sub_u32_e32 v17, 0x3f1, v4
	v_or_b32_e32 v3, 0x1000, v9
	v_med3_i32 v17, v17, 0, 13
	v_lshrrev_b32_e32 v18, v17, v3
	v_lshlrev_b32_e32 v17, v17, v18
	v_cmp_ne_u32_e32 vcc, v17, v3
	v_cndmask_b32_e64 v3, 0, 1, vcc
	v_add_u32_e32 v17, 0xfffffc10, v4
	v_or_b32_e32 v3, v18, v3
	v_lshl_or_b32 v4, v17, 12, v9
	v_cmp_gt_i32_e32 vcc, 1, v17
	v_cndmask_b32_e32 v3, v4, v3, vcc
	v_and_b32_e32 v4, 7, v3
	v_cmp_lt_i32_e32 vcc, 5, v4
	v_cmp_eq_u32_e64 s[0:1], 3, v4
	v_lshrrev_b32_e32 v3, 2, v3
	s_or_b64 vcc, s[0:1], vcc
	v_addc_co_u32_e32 v18, vcc, 0, v3, vcc
	ds_read2_b32 v[3:4], v14 offset0:184 offset1:239
	v_cmp_gt_i32_e32 vcc, 31, v17
	v_cndmask_b32_e32 v14, v13, v18, vcc
	v_cmp_ne_u32_e32 vcc, 0, v9
	v_cndmask_b32_e64 v9, 0, 1, vcc
	s_waitcnt lgkmcnt(0)
	v_lshrrev_b32_e32 v19, 16, v3
	v_mul_f16_sdwa v18, v153, v19 dst_sel:DWORD dst_unused:UNUSED_PAD src0_sel:WORD_1 src1_sel:DWORD
	v_fma_f16 v18, v153, v3, v18
	v_cvt_f32_f16_e32 v18, v18
	v_cmp_eq_u32_e32 vcc, s10, v17
	v_lshl_or_b32 v9, v9, 9, v13
	v_cndmask_b32_e32 v9, v14, v9, vcc
	v_cvt_f64_f32_e32 v[17:18], v18
	v_lshrrev_b32_e32 v5, 16, v5
	v_and_or_b32 v5, v5, s11, v9
	v_and_b32_e32 v7, 0xffff, v7
	v_mul_f64 v[17:18], v[17:18], s[4:5]
	v_lshl_or_b32 v5, v5, 16, v7
	v_mov_b32_e32 v7, s9
	v_add_co_u32_e32 v14, vcc, s8, v15
	v_addc_co_u32_e32 v15, vcc, v16, v7, vcc
	global_store_dword v[14:15], v5, off
	v_and_or_b32 v5, v18, s6, v17
	v_cmp_ne_u32_e32 vcc, 0, v5
	v_cndmask_b32_e64 v5, 0, 1, vcc
	v_lshrrev_b32_e32 v7, 8, v18
	v_bfe_u32 v9, v18, 20, 11
	v_and_or_b32 v5, v7, s7, v5
	v_sub_u32_e32 v16, 0x3f1, v9
	v_or_b32_e32 v7, 0x1000, v5
	v_med3_i32 v16, v16, 0, 13
	v_lshrrev_b32_e32 v17, v16, v7
	v_lshlrev_b32_e32 v16, v16, v17
	v_mul_f16_sdwa v3, v153, v3 dst_sel:DWORD dst_unused:UNUSED_PAD src0_sel:WORD_1 src1_sel:DWORD
	v_cmp_ne_u32_e32 vcc, v16, v7
	v_fma_f16 v3, v153, v19, -v3
	v_cndmask_b32_e64 v7, 0, 1, vcc
	v_add_u32_e32 v9, 0xfffffc10, v9
	v_cvt_f32_f16_e32 v3, v3
	v_or_b32_e32 v7, v17, v7
	v_lshl_or_b32 v16, v9, 12, v5
	v_cmp_gt_i32_e32 vcc, 1, v9
	v_cndmask_b32_e32 v7, v16, v7, vcc
	v_and_b32_e32 v16, 7, v7
	v_cmp_lt_i32_e32 vcc, 5, v16
	v_cmp_eq_u32_e64 s[0:1], 3, v16
	v_cvt_f64_f32_e32 v[16:17], v3
	v_lshrrev_b32_e32 v7, 2, v7
	s_or_b64 vcc, s[0:1], vcc
	v_addc_co_u32_e32 v3, vcc, 0, v7, vcc
	v_mul_f64 v[16:17], v[16:17], s[4:5]
	v_cmp_gt_i32_e32 vcc, 31, v9
	v_cndmask_b32_e32 v3, v13, v3, vcc
	v_cmp_ne_u32_e32 vcc, 0, v5
	v_cndmask_b32_e64 v5, 0, 1, vcc
	v_lshl_or_b32 v5, v5, 9, v13
	v_cmp_eq_u32_e32 vcc, s10, v9
	v_cndmask_b32_e32 v3, v3, v5, vcc
	v_lshrrev_b32_e32 v5, 16, v18
	v_and_or_b32 v3, v5, s11, v3
	v_and_or_b32 v5, v17, s6, v16
	v_cmp_ne_u32_e32 vcc, 0, v5
	v_cndmask_b32_e64 v5, 0, 1, vcc
	v_lshrrev_b32_e32 v7, 8, v17
	v_bfe_u32 v9, v17, 20, 11
	v_and_or_b32 v5, v7, s7, v5
	v_sub_u32_e32 v16, 0x3f1, v9
	v_or_b32_e32 v7, 0x1000, v5
	v_med3_i32 v16, v16, 0, 13
	v_lshrrev_b32_e32 v18, v16, v7
	v_lshlrev_b32_e32 v16, v16, v18
	v_cmp_ne_u32_e32 vcc, v16, v7
	v_cndmask_b32_e64 v7, 0, 1, vcc
	v_add_u32_e32 v9, 0xfffffc10, v9
	v_or_b32_e32 v7, v18, v7
	v_lshl_or_b32 v16, v9, 12, v5
	v_cmp_gt_i32_e32 vcc, 1, v9
	v_cndmask_b32_e32 v7, v16, v7, vcc
	v_and_b32_e32 v16, 7, v7
	v_lshrrev_b32_e32 v20, 16, v6
	v_cmp_lt_i32_e32 vcc, 5, v16
	v_cmp_eq_u32_e64 s[0:1], 3, v16
	v_mul_f16_sdwa v16, v150, v20 dst_sel:DWORD dst_unused:UNUSED_PAD src0_sel:WORD_1 src1_sel:DWORD
	v_fma_f16 v16, v150, v6, v16
	v_cvt_f32_f16_e32 v16, v16
	v_lshrrev_b32_e32 v7, 2, v7
	s_or_b64 vcc, s[0:1], vcc
	v_addc_co_u32_e32 v7, vcc, 0, v7, vcc
	v_cmp_gt_i32_e32 vcc, 31, v9
	v_cvt_f64_f32_e32 v[18:19], v16
	v_cndmask_b32_e32 v7, v13, v7, vcc
	v_cmp_ne_u32_e32 vcc, 0, v5
	v_cndmask_b32_e64 v5, 0, 1, vcc
	v_lshl_or_b32 v5, v5, 9, v13
	v_cmp_eq_u32_e32 vcc, s10, v9
	v_cndmask_b32_e32 v5, v7, v5, vcc
	v_lshrrev_b32_e32 v7, 16, v17
	v_mul_f64 v[16:17], v[18:19], s[4:5]
	v_and_or_b32 v5, v7, s11, v5
	v_and_b32_e32 v3, 0xffff, v3
	v_lshl_or_b32 v3, v5, 16, v3
	v_mov_b32_e32 v5, s2
	v_add_co_u32_e32 v14, vcc, s3, v14
	v_addc_co_u32_e32 v15, vcc, v15, v5, vcc
	global_store_dword v[14:15], v3, off
	v_and_or_b32 v3, v17, s6, v16
	v_cmp_ne_u32_e32 vcc, 0, v3
	v_cndmask_b32_e64 v3, 0, 1, vcc
	v_lshrrev_b32_e32 v5, 8, v17
	v_bfe_u32 v7, v17, 20, 11
	v_and_or_b32 v3, v5, s7, v3
	v_sub_u32_e32 v9, 0x3f1, v7
	v_or_b32_e32 v5, 0x1000, v3
	v_med3_i32 v9, v9, 0, 13
	v_lshrrev_b32_e32 v16, v9, v5
	v_lshlrev_b32_e32 v9, v9, v16
	v_mul_f16_sdwa v6, v150, v6 dst_sel:DWORD dst_unused:UNUSED_PAD src0_sel:WORD_1 src1_sel:DWORD
	v_cmp_ne_u32_e32 vcc, v9, v5
	v_fma_f16 v6, v150, v20, -v6
	v_cndmask_b32_e64 v5, 0, 1, vcc
	v_add_u32_e32 v9, 0xfffffc10, v7
	v_cvt_f32_f16_e32 v6, v6
	v_or_b32_e32 v5, v16, v5
	v_lshl_or_b32 v7, v9, 12, v3
	v_cmp_gt_i32_e32 vcc, 1, v9
	v_cndmask_b32_e32 v5, v7, v5, vcc
	v_and_b32_e32 v7, 7, v5
	v_cmp_lt_i32_e32 vcc, 5, v7
	v_cmp_eq_u32_e64 s[0:1], 3, v7
	v_lshrrev_b32_e32 v7, 2, v5
	v_cvt_f64_f32_e32 v[5:6], v6
	s_or_b64 vcc, s[0:1], vcc
	v_addc_co_u32_e32 v7, vcc, 0, v7, vcc
	v_cmp_gt_i32_e32 vcc, 31, v9
	v_cndmask_b32_e32 v16, v13, v7, vcc
	v_mul_f64 v[6:7], v[5:6], s[4:5]
	v_cmp_ne_u32_e32 vcc, 0, v3
	v_cndmask_b32_e64 v3, 0, 1, vcc
	v_lshl_or_b32 v3, v3, 9, v13
	v_cmp_eq_u32_e32 vcc, s10, v9
	v_cndmask_b32_e32 v3, v16, v3, vcc
	v_lshrrev_b32_e32 v5, 16, v17
	v_and_or_b32 v3, v5, s11, v3
	v_and_or_b32 v5, v7, s6, v6
	v_cmp_ne_u32_e32 vcc, 0, v5
	v_cndmask_b32_e64 v5, 0, 1, vcc
	v_lshrrev_b32_e32 v6, 8, v7
	v_and_or_b32 v9, v6, s7, v5
	v_bfe_u32 v6, v7, 20, 11
	v_sub_u32_e32 v16, 0x3f1, v6
	v_or_b32_e32 v5, 0x1000, v9
	v_med3_i32 v16, v16, 0, 13
	v_lshrrev_b32_e32 v17, v16, v5
	v_lshlrev_b32_e32 v16, v16, v17
	v_cmp_ne_u32_e32 vcc, v16, v5
	v_cndmask_b32_e64 v5, 0, 1, vcc
	v_add_u32_e32 v16, 0xfffffc10, v6
	v_or_b32_e32 v5, v17, v5
	v_lshl_or_b32 v6, v16, 12, v9
	v_cmp_gt_i32_e32 vcc, 1, v16
	v_cndmask_b32_e32 v5, v6, v5, vcc
	v_and_b32_e32 v6, 7, v5
	v_cmp_lt_i32_e32 vcc, 5, v6
	v_cmp_eq_u32_e64 s[0:1], 3, v6
	v_lshrrev_b32_e32 v5, 2, v5
	s_or_b64 vcc, s[0:1], vcc
	v_addc_co_u32_e32 v17, vcc, 0, v5, vcc
	ds_read2_b32 v[5:6], v12 offset0:94 offset1:149
	v_cmp_gt_i32_e32 vcc, 31, v16
	v_cndmask_b32_e32 v12, v13, v17, vcc
	v_cmp_ne_u32_e32 vcc, 0, v9
	v_cndmask_b32_e64 v9, 0, 1, vcc
	s_waitcnt lgkmcnt(0)
	v_lshrrev_b32_e32 v18, 16, v5
	v_mul_f16_sdwa v17, v151, v18 dst_sel:DWORD dst_unused:UNUSED_PAD src0_sel:WORD_1 src1_sel:DWORD
	v_fma_f16 v17, v151, v5, v17
	v_cvt_f32_f16_e32 v17, v17
	v_cmp_eq_u32_e32 vcc, s10, v16
	v_lshl_or_b32 v9, v9, 9, v13
	v_cndmask_b32_e32 v9, v12, v9, vcc
	v_cvt_f64_f32_e32 v[16:17], v17
	v_lshrrev_b32_e32 v7, 16, v7
	v_and_or_b32 v7, v7, s11, v9
	v_and_b32_e32 v3, 0xffff, v3
	v_mul_f64 v[16:17], v[16:17], s[4:5]
	v_lshl_or_b32 v3, v7, 16, v3
	v_mov_b32_e32 v7, s2
	v_add_co_u32_e32 v14, vcc, s3, v14
	v_addc_co_u32_e32 v15, vcc, v15, v7, vcc
	global_store_dword v[14:15], v3, off
	v_and_or_b32 v3, v17, s6, v16
	v_cmp_ne_u32_e32 vcc, 0, v3
	v_cndmask_b32_e64 v3, 0, 1, vcc
	v_lshrrev_b32_e32 v7, 8, v17
	v_bfe_u32 v9, v17, 20, 11
	v_mul_f16_sdwa v5, v151, v5 dst_sel:DWORD dst_unused:UNUSED_PAD src0_sel:WORD_1 src1_sel:DWORD
	v_and_or_b32 v3, v7, s7, v3
	v_sub_u32_e32 v12, 0x3f1, v9
	v_fma_f16 v5, v151, v18, -v5
	v_or_b32_e32 v7, 0x1000, v3
	v_med3_i32 v12, v12, 0, 13
	v_cvt_f32_f16_e32 v5, v5
	v_lshrrev_b32_e32 v16, v12, v7
	v_lshlrev_b32_e32 v12, v12, v16
	v_cmp_ne_u32_e32 vcc, v12, v7
	v_cndmask_b32_e64 v7, 0, 1, vcc
	v_add_u32_e32 v9, 0xfffffc10, v9
	v_cvt_f64_f32_e32 v[18:19], v5
	v_or_b32_e32 v7, v16, v7
	v_lshl_or_b32 v12, v9, 12, v3
	v_cmp_gt_i32_e32 vcc, 1, v9
	v_cndmask_b32_e32 v7, v12, v7, vcc
	v_and_b32_e32 v12, 7, v7
	v_cmp_lt_i32_e32 vcc, 5, v12
	v_cmp_eq_u32_e64 s[0:1], 3, v12
	v_mul_f64 v[18:19], v[18:19], s[4:5]
	v_lshrrev_b32_e32 v7, 2, v7
	s_or_b64 vcc, s[0:1], vcc
	v_addc_co_u32_e32 v5, vcc, 0, v7, vcc
	v_cmp_gt_i32_e32 vcc, 31, v9
	v_cndmask_b32_e32 v5, v13, v5, vcc
	v_cmp_ne_u32_e32 vcc, 0, v3
	v_cndmask_b32_e64 v3, 0, 1, vcc
	v_lshl_or_b32 v3, v3, 9, v13
	v_cmp_eq_u32_e32 vcc, s10, v9
	v_cndmask_b32_e32 v3, v5, v3, vcc
	v_lshrrev_b32_e32 v5, 16, v17
	v_and_or_b32 v3, v5, s11, v3
	v_and_or_b32 v5, v19, s6, v18
	v_cmp_ne_u32_e32 vcc, 0, v5
	v_cndmask_b32_e64 v5, 0, 1, vcc
	v_lshrrev_b32_e32 v7, 8, v19
	v_bfe_u32 v9, v19, 20, 11
	v_and_or_b32 v5, v7, s7, v5
	v_sub_u32_e32 v12, 0x3f1, v9
	v_or_b32_e32 v7, 0x1000, v5
	v_med3_i32 v12, v12, 0, 13
	v_lshrrev_b32_e32 v16, v12, v7
	v_lshlrev_b32_e32 v12, v12, v16
	v_cmp_ne_u32_e32 vcc, v12, v7
	v_cndmask_b32_e64 v7, 0, 1, vcc
	v_add_u32_e32 v9, 0xfffffc10, v9
	v_or_b32_e32 v7, v16, v7
	v_lshl_or_b32 v12, v9, 12, v5
	v_cmp_gt_i32_e32 vcc, 1, v9
	v_cndmask_b32_e32 v7, v12, v7, vcc
	v_and_b32_e32 v12, 7, v7
	v_cmp_lt_i32_e32 vcc, 5, v12
	v_cmp_eq_u32_e64 s[0:1], 3, v12
	v_lshrrev_b32_e32 v12, 16, v8
	v_mul_f16_sdwa v16, v149, v12 dst_sel:DWORD dst_unused:UNUSED_PAD src0_sel:WORD_1 src1_sel:DWORD
	v_fma_f16 v16, v149, v8, v16
	v_cvt_f32_f16_e32 v16, v16
	v_lshrrev_b32_e32 v7, 2, v7
	s_or_b64 vcc, s[0:1], vcc
	v_addc_co_u32_e32 v7, vcc, 0, v7, vcc
	v_cvt_f64_f32_e32 v[16:17], v16
	v_cmp_gt_i32_e32 vcc, 31, v9
	v_cndmask_b32_e32 v7, v13, v7, vcc
	v_cmp_ne_u32_e32 vcc, 0, v5
	v_mul_f64 v[16:17], v[16:17], s[4:5]
	v_cndmask_b32_e64 v5, 0, 1, vcc
	v_lshl_or_b32 v5, v5, 9, v13
	v_cmp_eq_u32_e32 vcc, s10, v9
	v_cndmask_b32_e32 v5, v7, v5, vcc
	v_lshrrev_b32_e32 v7, 16, v19
	v_and_or_b32 v5, v7, s11, v5
	v_and_b32_e32 v3, 0xffff, v3
	v_lshl_or_b32 v3, v5, 16, v3
	v_mov_b32_e32 v5, s2
	v_add_co_u32_e32 v14, vcc, s3, v14
	v_addc_co_u32_e32 v15, vcc, v15, v5, vcc
	global_store_dword v[14:15], v3, off
	v_and_or_b32 v3, v17, s6, v16
	v_cmp_ne_u32_e32 vcc, 0, v3
	v_cndmask_b32_e64 v3, 0, 1, vcc
	v_lshrrev_b32_e32 v5, 8, v17
	v_bfe_u32 v7, v17, 20, 11
	v_and_or_b32 v3, v5, s7, v3
	v_sub_u32_e32 v9, 0x3f1, v7
	v_or_b32_e32 v5, 0x1000, v3
	v_med3_i32 v9, v9, 0, 13
	v_lshrrev_b32_e32 v16, v9, v5
	v_lshlrev_b32_e32 v9, v9, v16
	v_cmp_ne_u32_e32 vcc, v9, v5
	v_mul_f16_sdwa v8, v149, v8 dst_sel:DWORD dst_unused:UNUSED_PAD src0_sel:WORD_1 src1_sel:DWORD
	v_cndmask_b32_e64 v5, 0, 1, vcc
	v_fma_f16 v8, v149, v12, -v8
	v_or_b32_e32 v5, v16, v5
	v_add_u32_e32 v16, 0xfffffc10, v7
	v_cvt_f32_f16_e32 v8, v8
	v_lshl_or_b32 v7, v16, 12, v3
	v_cmp_gt_i32_e32 vcc, 1, v16
	v_cndmask_b32_e32 v5, v7, v5, vcc
	v_and_b32_e32 v7, 7, v5
	v_cmp_lt_i32_e32 vcc, 5, v7
	v_cmp_eq_u32_e64 s[0:1], 3, v7
	v_cvt_f64_f32_e32 v[7:8], v8
	v_lshrrev_b32_e32 v5, 2, v5
	s_or_b64 vcc, s[0:1], vcc
	v_addc_co_u32_e32 v5, vcc, 0, v5, vcc
	v_mul_f64 v[8:9], v[7:8], s[4:5]
	v_cmp_gt_i32_e32 vcc, 31, v16
	v_cndmask_b32_e32 v5, v13, v5, vcc
	v_cmp_ne_u32_e32 vcc, 0, v3
	v_cndmask_b32_e64 v3, 0, 1, vcc
	v_lshl_or_b32 v3, v3, 9, v13
	v_cmp_eq_u32_e32 vcc, s10, v16
	v_cndmask_b32_e32 v3, v5, v3, vcc
	v_lshrrev_b32_e32 v5, 16, v17
	v_and_or_b32 v3, v5, s11, v3
	v_and_or_b32 v5, v9, s6, v8
	v_cmp_ne_u32_e32 vcc, 0, v5
	v_cndmask_b32_e64 v5, 0, 1, vcc
	v_lshrrev_b32_e32 v7, 8, v9
	v_bfe_u32 v8, v9, 20, 11
	v_and_or_b32 v5, v7, s7, v5
	v_sub_u32_e32 v12, 0x3f1, v8
	v_or_b32_e32 v7, 0x1000, v5
	v_med3_i32 v12, v12, 0, 13
	v_lshrrev_b32_e32 v16, v12, v7
	v_lshlrev_b32_e32 v12, v12, v16
	v_cmp_ne_u32_e32 vcc, v12, v7
	v_cndmask_b32_e64 v7, 0, 1, vcc
	v_add_u32_e32 v12, 0xfffffc10, v8
	v_or_b32_e32 v7, v16, v7
	v_lshl_or_b32 v8, v12, 12, v5
	v_cmp_gt_i32_e32 vcc, 1, v12
	v_cndmask_b32_e32 v7, v8, v7, vcc
	v_and_b32_e32 v8, 7, v7
	v_cmp_lt_i32_e32 vcc, 5, v8
	v_cmp_eq_u32_e64 s[0:1], 3, v8
	v_lshrrev_b32_e32 v7, 2, v7
	s_or_b64 vcc, s[0:1], vcc
	v_addc_co_u32_e32 v16, vcc, 0, v7, vcc
	ds_read2_b32 v[7:8], v11 offset0:4 offset1:59
	v_cmp_gt_i32_e32 vcc, 31, v12
	v_cndmask_b32_e32 v11, v13, v16, vcc
	v_cmp_ne_u32_e32 vcc, 0, v5
	v_cndmask_b32_e64 v5, 0, 1, vcc
	s_waitcnt lgkmcnt(0)
	v_lshrrev_b32_e32 v16, 16, v7
	v_mul_f16_sdwa v17, v148, v16 dst_sel:DWORD dst_unused:UNUSED_PAD src0_sel:WORD_1 src1_sel:DWORD
	v_fma_f16 v17, v148, v7, v17
	v_cvt_f32_f16_e32 v17, v17
	v_lshl_or_b32 v5, v5, 9, v13
	v_cmp_eq_u32_e32 vcc, s10, v12
	v_cndmask_b32_e32 v5, v11, v5, vcc
	v_cvt_f64_f32_e32 v[11:12], v17
	v_lshrrev_b32_e32 v9, 16, v9
	v_and_or_b32 v5, v9, s11, v5
	v_and_b32_e32 v3, 0xffff, v3
	v_mul_f64 v[11:12], v[11:12], s[4:5]
	v_lshl_or_b32 v3, v5, 16, v3
	v_mov_b32_e32 v5, s2
	v_add_co_u32_e32 v14, vcc, s3, v14
	v_addc_co_u32_e32 v15, vcc, v15, v5, vcc
	global_store_dword v[14:15], v3, off
	v_and_or_b32 v3, v12, s6, v11
	v_cmp_ne_u32_e32 vcc, 0, v3
	v_cndmask_b32_e64 v3, 0, 1, vcc
	v_lshrrev_b32_e32 v5, 8, v12
	v_bfe_u32 v9, v12, 20, 11
	v_and_or_b32 v3, v5, s7, v3
	v_sub_u32_e32 v11, 0x3f1, v9
	v_mul_f16_sdwa v7, v148, v7 dst_sel:DWORD dst_unused:UNUSED_PAD src0_sel:WORD_1 src1_sel:DWORD
	v_or_b32_e32 v5, 0x1000, v3
	v_med3_i32 v11, v11, 0, 13
	v_fma_f16 v7, v148, v16, -v7
	v_lshrrev_b32_e32 v17, v11, v5
	v_cvt_f32_f16_e32 v7, v7
	v_lshlrev_b32_e32 v11, v11, v17
	v_cmp_ne_u32_e32 vcc, v11, v5
	v_cndmask_b32_e64 v5, 0, 1, vcc
	v_or_b32_e32 v5, v17, v5
	v_add_u32_e32 v9, 0xfffffc10, v9
	v_cvt_f64_f32_e32 v[16:17], v7
	v_lshl_or_b32 v11, v9, 12, v3
	v_cmp_gt_i32_e32 vcc, 1, v9
	v_cndmask_b32_e32 v5, v11, v5, vcc
	v_and_b32_e32 v11, 7, v5
	v_cmp_lt_i32_e32 vcc, 5, v11
	v_cmp_eq_u32_e64 s[0:1], 3, v11
	v_mul_f64 v[16:17], v[16:17], s[4:5]
	v_lshrrev_b32_e32 v5, 2, v5
	s_or_b64 vcc, s[0:1], vcc
	v_addc_co_u32_e32 v5, vcc, 0, v5, vcc
	v_cmp_gt_i32_e32 vcc, 31, v9
	v_cndmask_b32_e32 v5, v13, v5, vcc
	v_cmp_ne_u32_e32 vcc, 0, v3
	v_cndmask_b32_e64 v3, 0, 1, vcc
	v_lshl_or_b32 v3, v3, 9, v13
	v_cmp_eq_u32_e32 vcc, s10, v9
	v_cndmask_b32_e32 v3, v5, v3, vcc
	v_lshrrev_b32_e32 v5, 16, v12
	v_and_or_b32 v3, v5, s11, v3
	v_and_or_b32 v5, v17, s6, v16
	v_cmp_ne_u32_e32 vcc, 0, v5
	v_cndmask_b32_e64 v5, 0, 1, vcc
	v_lshrrev_b32_e32 v7, 8, v17
	v_bfe_u32 v9, v17, 20, 11
	v_and_or_b32 v5, v7, s7, v5
	v_sub_u32_e32 v11, 0x3f1, v9
	v_or_b32_e32 v7, 0x1000, v5
	v_med3_i32 v11, v11, 0, 13
	v_lshrrev_b32_e32 v12, v11, v7
	v_lshlrev_b32_e32 v11, v11, v12
	v_cmp_ne_u32_e32 vcc, v11, v7
	v_cndmask_b32_e64 v7, 0, 1, vcc
	v_add_u32_e32 v9, 0xfffffc10, v9
	v_or_b32_e32 v7, v12, v7
	v_lshl_or_b32 v11, v9, 12, v5
	v_cmp_gt_i32_e32 vcc, 1, v9
	v_cndmask_b32_e32 v7, v11, v7, vcc
	v_and_b32_e32 v11, 7, v7
	v_lshrrev_b32_e32 v16, 16, v10
	v_cmp_lt_i32_e32 vcc, 5, v11
	v_cmp_eq_u32_e64 s[0:1], 3, v11
	v_mul_f16_sdwa v11, v147, v16 dst_sel:DWORD dst_unused:UNUSED_PAD src0_sel:WORD_1 src1_sel:DWORD
	v_fma_f16 v11, v147, v10, v11
	v_cvt_f32_f16_e32 v11, v11
	v_lshrrev_b32_e32 v7, 2, v7
	s_or_b64 vcc, s[0:1], vcc
	v_addc_co_u32_e32 v7, vcc, 0, v7, vcc
	v_cvt_f64_f32_e32 v[11:12], v11
	v_cmp_gt_i32_e32 vcc, 31, v9
	v_cndmask_b32_e32 v7, v13, v7, vcc
	v_cmp_ne_u32_e32 vcc, 0, v5
	v_mul_f64 v[11:12], v[11:12], s[4:5]
	v_cndmask_b32_e64 v5, 0, 1, vcc
	v_lshl_or_b32 v5, v5, 9, v13
	v_cmp_eq_u32_e32 vcc, s10, v9
	v_cndmask_b32_e32 v5, v7, v5, vcc
	v_lshrrev_b32_e32 v7, 16, v17
	v_and_or_b32 v5, v7, s11, v5
	v_and_b32_e32 v3, 0xffff, v3
	v_lshl_or_b32 v3, v5, 16, v3
	v_mov_b32_e32 v5, s2
	v_add_co_u32_e32 v14, vcc, s3, v14
	v_addc_co_u32_e32 v15, vcc, v15, v5, vcc
	global_store_dword v[14:15], v3, off
	v_and_or_b32 v3, v12, s6, v11
	v_cmp_ne_u32_e32 vcc, 0, v3
	v_cndmask_b32_e64 v3, 0, 1, vcc
	v_lshrrev_b32_e32 v5, 8, v12
	v_bfe_u32 v7, v12, 20, 11
	v_and_or_b32 v3, v5, s7, v3
	v_sub_u32_e32 v9, 0x3f1, v7
	v_or_b32_e32 v5, 0x1000, v3
	v_med3_i32 v9, v9, 0, 13
	v_lshrrev_b32_e32 v11, v9, v5
	v_lshlrev_b32_e32 v9, v9, v11
	v_mul_f16_sdwa v10, v147, v10 dst_sel:DWORD dst_unused:UNUSED_PAD src0_sel:WORD_1 src1_sel:DWORD
	v_cmp_ne_u32_e32 vcc, v9, v5
	v_fma_f16 v10, v147, v16, -v10
	v_cndmask_b32_e64 v5, 0, 1, vcc
	v_add_u32_e32 v7, 0xfffffc10, v7
	v_cvt_f32_f16_e32 v10, v10
	v_or_b32_e32 v5, v11, v5
	v_lshl_or_b32 v9, v7, 12, v3
	v_cmp_gt_i32_e32 vcc, 1, v7
	v_cndmask_b32_e32 v5, v9, v5, vcc
	v_and_b32_e32 v9, 7, v5
	v_cmp_lt_i32_e32 vcc, 5, v9
	v_cmp_eq_u32_e64 s[0:1], 3, v9
	v_cvt_f64_f32_e32 v[9:10], v10
	v_lshrrev_b32_e32 v5, 2, v5
	s_or_b64 vcc, s[0:1], vcc
	v_addc_co_u32_e32 v5, vcc, 0, v5, vcc
	v_mul_f64 v[9:10], v[9:10], s[4:5]
	v_cmp_gt_i32_e32 vcc, 31, v7
	v_cndmask_b32_e32 v5, v13, v5, vcc
	v_cmp_ne_u32_e32 vcc, 0, v3
	v_cndmask_b32_e64 v3, 0, 1, vcc
	v_lshl_or_b32 v3, v3, 9, v13
	v_cmp_eq_u32_e32 vcc, s10, v7
	v_cndmask_b32_e32 v3, v5, v3, vcc
	v_lshrrev_b32_e32 v5, 16, v12
	v_and_or_b32 v3, v5, s11, v3
	v_and_or_b32 v5, v10, s6, v9
	v_cmp_ne_u32_e32 vcc, 0, v5
	v_cndmask_b32_e64 v5, 0, 1, vcc
	v_lshrrev_b32_e32 v7, 8, v10
	v_bfe_u32 v9, v10, 20, 11
	v_and_or_b32 v5, v7, s7, v5
	v_sub_u32_e32 v11, 0x3f1, v9
	v_or_b32_e32 v7, 0x1000, v5
	v_med3_i32 v11, v11, 0, 13
	v_lshrrev_b32_e32 v12, v11, v7
	v_lshlrev_b32_e32 v11, v11, v12
	v_cmp_ne_u32_e32 vcc, v11, v7
	v_cndmask_b32_e64 v7, 0, 1, vcc
	v_add_u32_e32 v9, 0xfffffc10, v9
	v_or_b32_e32 v7, v12, v7
	v_lshl_or_b32 v11, v9, 12, v5
	v_cmp_gt_i32_e32 vcc, 1, v9
	v_cndmask_b32_e32 v7, v11, v7, vcc
	v_and_b32_e32 v11, 7, v7
	v_lshrrev_b32_e32 v16, 16, v0
	v_cmp_lt_i32_e32 vcc, 5, v11
	v_cmp_eq_u32_e64 s[0:1], 3, v11
	v_mul_f16_sdwa v11, v146, v16 dst_sel:DWORD dst_unused:UNUSED_PAD src0_sel:WORD_1 src1_sel:DWORD
	v_fma_f16 v11, v146, v0, v11
	v_cvt_f32_f16_e32 v11, v11
	v_lshrrev_b32_e32 v7, 2, v7
	s_or_b64 vcc, s[0:1], vcc
	v_addc_co_u32_e32 v7, vcc, 0, v7, vcc
	v_cmp_gt_i32_e32 vcc, 31, v9
	v_cvt_f64_f32_e32 v[11:12], v11
	v_cndmask_b32_e32 v7, v13, v7, vcc
	v_cmp_ne_u32_e32 vcc, 0, v5
	v_cndmask_b32_e64 v5, 0, 1, vcc
	v_lshl_or_b32 v5, v5, 9, v13
	v_cmp_eq_u32_e32 vcc, s10, v9
	v_cndmask_b32_e32 v5, v7, v5, vcc
	v_lshrrev_b32_e32 v7, 16, v10
	v_mul_f64 v[9:10], v[11:12], s[4:5]
	v_and_or_b32 v5, v7, s11, v5
	v_and_b32_e32 v3, 0xffff, v3
	v_lshl_or_b32 v3, v5, 16, v3
	v_mov_b32_e32 v5, s2
	v_add_co_u32_e32 v11, vcc, s3, v14
	v_addc_co_u32_e32 v12, vcc, v15, v5, vcc
	global_store_dword v[11:12], v3, off
	v_and_or_b32 v3, v10, s6, v9
	v_cmp_ne_u32_e32 vcc, 0, v3
	v_cndmask_b32_e64 v3, 0, 1, vcc
	v_lshrrev_b32_e32 v5, 8, v10
	v_bfe_u32 v7, v10, 20, 11
	v_and_or_b32 v3, v5, s7, v3
	v_sub_u32_e32 v9, 0x3f1, v7
	v_mul_f16_sdwa v0, v146, v0 dst_sel:DWORD dst_unused:UNUSED_PAD src0_sel:WORD_1 src1_sel:DWORD
	v_or_b32_e32 v5, 0x1000, v3
	v_med3_i32 v9, v9, 0, 13
	v_fma_f16 v0, v146, v16, -v0
	v_lshrrev_b32_e32 v14, v9, v5
	v_cvt_f32_f16_e32 v0, v0
	v_lshlrev_b32_e32 v9, v9, v14
	v_cmp_ne_u32_e32 vcc, v9, v5
	v_cndmask_b32_e64 v5, 0, 1, vcc
	v_or_b32_e32 v5, v14, v5
	v_add_u32_e32 v7, 0xfffffc10, v7
	v_cvt_f64_f32_e32 v[14:15], v0
	v_lshl_or_b32 v9, v7, 12, v3
	v_cmp_gt_i32_e32 vcc, 1, v7
	v_cndmask_b32_e32 v5, v9, v5, vcc
	v_and_b32_e32 v9, 7, v5
	v_cmp_lt_i32_e32 vcc, 5, v9
	v_cmp_eq_u32_e64 s[0:1], 3, v9
	v_mul_f64 v[14:15], v[14:15], s[4:5]
	v_lshrrev_b32_e32 v5, 2, v5
	s_or_b64 vcc, s[0:1], vcc
	v_addc_co_u32_e32 v0, vcc, 0, v5, vcc
	v_cmp_gt_i32_e32 vcc, 31, v7
	v_cndmask_b32_e32 v0, v13, v0, vcc
	v_cmp_ne_u32_e32 vcc, 0, v3
	v_cndmask_b32_e64 v3, 0, 1, vcc
	v_lshl_or_b32 v3, v3, 9, v13
	v_cmp_eq_u32_e32 vcc, s10, v7
	v_cndmask_b32_e32 v0, v0, v3, vcc
	v_lshrrev_b32_e32 v3, 16, v10
	v_and_or_b32 v0, v3, s11, v0
	v_and_or_b32 v3, v15, s6, v14
	v_cmp_ne_u32_e32 vcc, 0, v3
	v_cndmask_b32_e64 v3, 0, 1, vcc
	v_lshrrev_b32_e32 v5, 8, v15
	v_bfe_u32 v7, v15, 20, 11
	v_and_or_b32 v3, v5, s7, v3
	v_sub_u32_e32 v9, 0x3f1, v7
	v_or_b32_e32 v5, 0x1000, v3
	v_med3_i32 v9, v9, 0, 13
	v_lshrrev_b32_e32 v10, v9, v5
	v_lshlrev_b32_e32 v9, v9, v10
	v_cmp_ne_u32_e32 vcc, v9, v5
	v_cndmask_b32_e64 v5, 0, 1, vcc
	v_add_u32_e32 v7, 0xfffffc10, v7
	v_or_b32_e32 v5, v10, v5
	v_lshl_or_b32 v9, v7, 12, v3
	v_cmp_gt_i32_e32 vcc, 1, v7
	v_cndmask_b32_e32 v5, v9, v5, vcc
	v_and_b32_e32 v9, 7, v5
	v_lshrrev_b32_e32 v14, 16, v4
	v_cmp_lt_i32_e32 vcc, 5, v9
	v_cmp_eq_u32_e64 s[0:1], 3, v9
	v_mul_f16_sdwa v9, v145, v14 dst_sel:DWORD dst_unused:UNUSED_PAD src0_sel:WORD_1 src1_sel:DWORD
	v_fma_f16 v9, v145, v4, v9
	v_cvt_f32_f16_e32 v9, v9
	v_lshrrev_b32_e32 v5, 2, v5
	s_or_b64 vcc, s[0:1], vcc
	v_addc_co_u32_e32 v5, vcc, 0, v5, vcc
	v_cvt_f64_f32_e32 v[9:10], v9
	v_cmp_gt_i32_e32 vcc, 31, v7
	v_cndmask_b32_e32 v5, v13, v5, vcc
	v_cmp_ne_u32_e32 vcc, 0, v3
	v_mul_f64 v[9:10], v[9:10], s[4:5]
	v_cndmask_b32_e64 v3, 0, 1, vcc
	v_lshl_or_b32 v3, v3, 9, v13
	v_cmp_eq_u32_e32 vcc, s10, v7
	v_cndmask_b32_e32 v3, v5, v3, vcc
	v_lshrrev_b32_e32 v5, 16, v15
	v_and_or_b32 v3, v5, s11, v3
	v_and_b32_e32 v0, 0xffff, v0
	v_lshl_or_b32 v0, v3, 16, v0
	v_mov_b32_e32 v3, s9
	v_add_co_u32_e32 v11, vcc, s8, v11
	v_addc_co_u32_e32 v12, vcc, v12, v3, vcc
	global_store_dword v[11:12], v0, off
	v_and_or_b32 v0, v10, s6, v9
	v_cmp_ne_u32_e32 vcc, 0, v0
	v_cndmask_b32_e64 v0, 0, 1, vcc
	v_lshrrev_b32_e32 v3, 8, v10
	v_bfe_u32 v5, v10, 20, 11
	v_and_or_b32 v0, v3, s7, v0
	v_sub_u32_e32 v7, 0x3f1, v5
	v_or_b32_e32 v3, 0x1000, v0
	v_med3_i32 v7, v7, 0, 13
	v_lshrrev_b32_e32 v9, v7, v3
	v_lshlrev_b32_e32 v7, v7, v9
	v_mul_f16_sdwa v4, v145, v4 dst_sel:DWORD dst_unused:UNUSED_PAD src0_sel:WORD_1 src1_sel:DWORD
	v_cmp_ne_u32_e32 vcc, v7, v3
	v_fma_f16 v4, v145, v14, -v4
	v_cndmask_b32_e64 v3, 0, 1, vcc
	v_add_u32_e32 v5, 0xfffffc10, v5
	v_cvt_f32_f16_e32 v4, v4
	v_or_b32_e32 v3, v9, v3
	v_lshl_or_b32 v7, v5, 12, v0
	v_cmp_gt_i32_e32 vcc, 1, v5
	v_cndmask_b32_e32 v3, v7, v3, vcc
	v_and_b32_e32 v7, 7, v3
	v_cmp_lt_i32_e32 vcc, 5, v7
	v_cmp_eq_u32_e64 s[0:1], 3, v7
	v_lshrrev_b32_e32 v7, 2, v3
	v_cvt_f64_f32_e32 v[3:4], v4
	s_or_b64 vcc, s[0:1], vcc
	v_addc_co_u32_e32 v7, vcc, 0, v7, vcc
	v_mul_f64 v[3:4], v[3:4], s[4:5]
	v_cmp_gt_i32_e32 vcc, 31, v5
	v_cndmask_b32_e32 v7, v13, v7, vcc
	v_cmp_ne_u32_e32 vcc, 0, v0
	v_cndmask_b32_e64 v0, 0, 1, vcc
	v_lshl_or_b32 v0, v0, 9, v13
	v_cmp_eq_u32_e32 vcc, s10, v5
	v_cndmask_b32_e32 v0, v7, v0, vcc
	v_and_or_b32 v3, v4, s6, v3
	v_lshrrev_b32_e32 v5, 16, v10
	v_cmp_ne_u32_e32 vcc, 0, v3
	v_and_or_b32 v0, v5, s11, v0
	v_cndmask_b32_e64 v3, 0, 1, vcc
	v_lshrrev_b32_e32 v5, 8, v4
	v_bfe_u32 v7, v4, 20, 11
	v_and_or_b32 v3, v5, s7, v3
	v_sub_u32_e32 v9, 0x3f1, v7
	v_or_b32_e32 v5, 0x1000, v3
	v_med3_i32 v9, v9, 0, 13
	v_lshrrev_b32_e32 v10, v9, v5
	v_lshlrev_b32_e32 v9, v9, v10
	v_cmp_ne_u32_e32 vcc, v9, v5
	v_cndmask_b32_e64 v5, 0, 1, vcc
	v_add_u32_e32 v7, 0xfffffc10, v7
	v_or_b32_e32 v5, v10, v5
	v_lshl_or_b32 v9, v7, 12, v3
	v_cmp_gt_i32_e32 vcc, 1, v7
	v_cndmask_b32_e32 v5, v9, v5, vcc
	v_and_b32_e32 v9, 7, v5
	v_lshrrev_b32_e32 v14, 16, v1
	v_cmp_lt_i32_e32 vcc, 5, v9
	v_cmp_eq_u32_e64 s[0:1], 3, v9
	v_mul_f16_sdwa v9, v144, v14 dst_sel:DWORD dst_unused:UNUSED_PAD src0_sel:WORD_1 src1_sel:DWORD
	v_fma_f16 v9, v144, v1, v9
	v_cvt_f32_f16_e32 v9, v9
	v_lshrrev_b32_e32 v5, 2, v5
	s_or_b64 vcc, s[0:1], vcc
	v_addc_co_u32_e32 v5, vcc, 0, v5, vcc
	v_cmp_gt_i32_e32 vcc, 31, v7
	v_cndmask_b32_e32 v5, v13, v5, vcc
	v_cmp_ne_u32_e32 vcc, 0, v3
	v_cvt_f64_f32_e32 v[9:10], v9
	v_cndmask_b32_e64 v3, 0, 1, vcc
	v_lshl_or_b32 v3, v3, 9, v13
	v_cmp_eq_u32_e32 vcc, s10, v7
	v_cndmask_b32_e32 v3, v5, v3, vcc
	v_lshrrev_b32_e32 v4, 16, v4
	v_and_or_b32 v5, v4, s11, v3
	v_mul_f64 v[3:4], v[9:10], s[4:5]
	v_and_b32_e32 v0, 0xffff, v0
	v_lshl_or_b32 v0, v5, 16, v0
	v_mov_b32_e32 v5, s2
	v_add_co_u32_e32 v9, vcc, s3, v11
	v_addc_co_u32_e32 v10, vcc, v12, v5, vcc
	global_store_dword v[9:10], v0, off
	v_and_or_b32 v0, v4, s6, v3
	v_cmp_ne_u32_e32 vcc, 0, v0
	v_cndmask_b32_e64 v0, 0, 1, vcc
	v_lshrrev_b32_e32 v3, 8, v4
	v_bfe_u32 v5, v4, 20, 11
	v_and_or_b32 v3, v3, s7, v0
	v_sub_u32_e32 v7, 0x3f1, v5
	v_or_b32_e32 v0, 0x1000, v3
	v_med3_i32 v7, v7, 0, 13
	v_lshrrev_b32_e32 v11, v7, v0
	v_lshlrev_b32_e32 v7, v7, v11
	v_mul_f16_sdwa v1, v144, v1 dst_sel:DWORD dst_unused:UNUSED_PAD src0_sel:WORD_1 src1_sel:DWORD
	v_cmp_ne_u32_e32 vcc, v7, v0
	v_fma_f16 v1, v144, v14, -v1
	v_cndmask_b32_e64 v0, 0, 1, vcc
	v_add_u32_e32 v5, 0xfffffc10, v5
	v_cvt_f32_f16_e32 v1, v1
	v_or_b32_e32 v0, v11, v0
	v_lshl_or_b32 v7, v5, 12, v3
	v_cmp_gt_i32_e32 vcc, 1, v5
	v_cndmask_b32_e32 v0, v7, v0, vcc
	v_and_b32_e32 v7, 7, v0
	v_cmp_lt_i32_e32 vcc, 5, v7
	v_cmp_eq_u32_e64 s[0:1], 3, v7
	v_lshrrev_b32_e32 v7, 2, v0
	v_cvt_f64_f32_e32 v[0:1], v1
	s_or_b64 vcc, s[0:1], vcc
	v_addc_co_u32_e32 v7, vcc, 0, v7, vcc
	v_mul_f64 v[0:1], v[0:1], s[4:5]
	v_cmp_gt_i32_e32 vcc, 31, v5
	v_cndmask_b32_e32 v7, v13, v7, vcc
	v_cmp_ne_u32_e32 vcc, 0, v3
	v_cndmask_b32_e64 v3, 0, 1, vcc
	v_lshl_or_b32 v3, v3, 9, v13
	v_cmp_eq_u32_e32 vcc, s10, v5
	v_cndmask_b32_e32 v3, v7, v3, vcc
	v_and_or_b32 v0, v1, s6, v0
	v_lshrrev_b32_e32 v4, 16, v4
	v_cmp_ne_u32_e32 vcc, 0, v0
	v_and_or_b32 v5, v4, s11, v3
	v_cndmask_b32_e64 v0, 0, 1, vcc
	v_lshrrev_b32_e32 v3, 8, v1
	v_bfe_u32 v4, v1, 20, 11
	v_and_or_b32 v0, v3, s7, v0
	v_sub_u32_e32 v7, 0x3f1, v4
	v_or_b32_e32 v3, 0x1000, v0
	v_med3_i32 v7, v7, 0, 13
	v_lshrrev_b32_e32 v11, v7, v3
	v_lshlrev_b32_e32 v7, v7, v11
	v_cmp_ne_u32_e32 vcc, v7, v3
	v_cndmask_b32_e64 v3, 0, 1, vcc
	v_add_u32_e32 v4, 0xfffffc10, v4
	v_or_b32_e32 v3, v11, v3
	v_lshl_or_b32 v7, v4, 12, v0
	v_cmp_gt_i32_e32 vcc, 1, v4
	v_cndmask_b32_e32 v3, v7, v3, vcc
	v_and_b32_e32 v7, 7, v3
	v_cmp_lt_i32_e32 vcc, 5, v7
	v_cmp_eq_u32_e64 s[0:1], 3, v7
	v_lshrrev_b32_e32 v7, 16, v6
	v_lshrrev_b32_e32 v3, 2, v3
	s_or_b64 vcc, s[0:1], vcc
	v_mul_f16_sdwa v11, v143, v7 dst_sel:DWORD dst_unused:UNUSED_PAD src0_sel:WORD_1 src1_sel:DWORD
	v_addc_co_u32_e32 v3, vcc, 0, v3, vcc
	v_fma_f16 v11, v143, v6, v11
	v_cmp_gt_i32_e32 vcc, 31, v4
	v_cvt_f32_f16_e32 v11, v11
	v_cndmask_b32_e32 v3, v13, v3, vcc
	v_cmp_ne_u32_e32 vcc, 0, v0
	v_cndmask_b32_e64 v0, 0, 1, vcc
	v_lshl_or_b32 v0, v0, 9, v13
	v_cmp_eq_u32_e32 vcc, s10, v4
	v_cndmask_b32_e32 v0, v3, v0, vcc
	v_cvt_f64_f32_e32 v[3:4], v11
	v_lshrrev_b32_e32 v1, 16, v1
	v_and_or_b32 v11, v1, s11, v0
	v_and_b32_e32 v5, 0xffff, v5
	v_mul_f64 v[0:1], v[3:4], s[4:5]
	v_mov_b32_e32 v4, s2
	v_add_co_u32_e32 v3, vcc, s3, v9
	v_addc_co_u32_e32 v4, vcc, v10, v4, vcc
	v_lshl_or_b32 v5, v11, 16, v5
	global_store_dword v[3:4], v5, off
	v_and_or_b32 v0, v1, s6, v0
	v_cmp_ne_u32_e32 vcc, 0, v0
	v_cndmask_b32_e64 v0, 0, 1, vcc
	v_lshrrev_b32_e32 v5, 8, v1
	v_bfe_u32 v9, v1, 20, 11
	v_and_or_b32 v0, v5, s7, v0
	v_sub_u32_e32 v10, 0x3f1, v9
	v_or_b32_e32 v5, 0x1000, v0
	v_med3_i32 v10, v10, 0, 13
	v_lshrrev_b32_e32 v11, v10, v5
	v_mul_f16_sdwa v6, v143, v6 dst_sel:DWORD dst_unused:UNUSED_PAD src0_sel:WORD_1 src1_sel:DWORD
	v_lshlrev_b32_e32 v10, v10, v11
	v_fma_f16 v6, v143, v7, -v6
	v_cmp_ne_u32_e32 vcc, v10, v5
	v_cvt_f32_f16_e32 v6, v6
	v_cndmask_b32_e64 v5, 0, 1, vcc
	v_add_u32_e32 v9, 0xfffffc10, v9
	v_or_b32_e32 v5, v11, v5
	v_lshl_or_b32 v10, v9, 12, v0
	v_cmp_gt_i32_e32 vcc, 1, v9
	v_cndmask_b32_e32 v5, v10, v5, vcc
	v_and_b32_e32 v10, 7, v5
	v_lshrrev_b32_e32 v7, 2, v5
	v_cvt_f64_f32_e32 v[5:6], v6
	v_cmp_lt_i32_e32 vcc, 5, v10
	v_cmp_eq_u32_e64 s[0:1], 3, v10
	s_or_b64 vcc, s[0:1], vcc
	v_mul_f64 v[5:6], v[5:6], s[4:5]
	v_addc_co_u32_e32 v7, vcc, 0, v7, vcc
	v_cmp_gt_i32_e32 vcc, 31, v9
	v_cndmask_b32_e32 v7, v13, v7, vcc
	v_cmp_ne_u32_e32 vcc, 0, v0
	v_cndmask_b32_e64 v0, 0, 1, vcc
	v_lshl_or_b32 v0, v0, 9, v13
	v_cmp_eq_u32_e32 vcc, s10, v9
	v_cndmask_b32_e32 v0, v7, v0, vcc
	v_lshrrev_b32_e32 v1, 16, v1
	v_and_or_b32 v7, v1, s11, v0
	v_and_or_b32 v0, v6, s6, v5
	v_cmp_ne_u32_e32 vcc, 0, v0
	v_cndmask_b32_e64 v0, 0, 1, vcc
	v_lshrrev_b32_e32 v1, 8, v6
	v_bfe_u32 v5, v6, 20, 11
	v_and_or_b32 v0, v1, s7, v0
	v_sub_u32_e32 v9, 0x3f1, v5
	v_or_b32_e32 v1, 0x1000, v0
	v_med3_i32 v9, v9, 0, 13
	v_lshrrev_b32_e32 v10, v9, v1
	v_lshlrev_b32_e32 v9, v9, v10
	v_cmp_ne_u32_e32 vcc, v9, v1
	v_cndmask_b32_e64 v1, 0, 1, vcc
	v_add_u32_e32 v5, 0xfffffc10, v5
	v_or_b32_e32 v1, v10, v1
	v_lshl_or_b32 v9, v5, 12, v0
	v_cmp_gt_i32_e32 vcc, 1, v5
	v_cndmask_b32_e32 v1, v9, v1, vcc
	v_and_b32_e32 v9, 7, v1
	v_cmp_lt_i32_e32 vcc, 5, v9
	v_cmp_eq_u32_e64 s[0:1], 3, v9
	v_lshrrev_b32_e32 v9, 16, v2
	v_lshrrev_b32_e32 v1, 2, v1
	s_or_b64 vcc, s[0:1], vcc
	v_mul_f16_sdwa v10, v142, v9 dst_sel:DWORD dst_unused:UNUSED_PAD src0_sel:WORD_1 src1_sel:DWORD
	v_addc_co_u32_e32 v1, vcc, 0, v1, vcc
	v_fma_f16 v10, v142, v2, v10
	v_cmp_gt_i32_e32 vcc, 31, v5
	v_cvt_f32_f16_e32 v10, v10
	v_cndmask_b32_e32 v1, v13, v1, vcc
	v_cmp_ne_u32_e32 vcc, 0, v0
	v_cndmask_b32_e64 v0, 0, 1, vcc
	v_lshl_or_b32 v0, v0, 9, v13
	v_cmp_eq_u32_e32 vcc, s10, v5
	v_cndmask_b32_e32 v5, v1, v0, vcc
	v_cvt_f64_f32_e32 v[0:1], v10
	v_lshrrev_b32_e32 v6, 16, v6
	v_and_or_b32 v5, v6, s11, v5
	v_and_b32_e32 v6, 0xffff, v7
	v_mul_f64 v[0:1], v[0:1], s[4:5]
	v_lshl_or_b32 v5, v5, 16, v6
	v_mov_b32_e32 v6, s2
	v_add_co_u32_e32 v3, vcc, s3, v3
	v_addc_co_u32_e32 v4, vcc, v4, v6, vcc
	global_store_dword v[3:4], v5, off
	v_and_or_b32 v0, v1, s6, v0
	v_cmp_ne_u32_e32 vcc, 0, v0
	v_cndmask_b32_e64 v0, 0, 1, vcc
	v_lshrrev_b32_e32 v5, 8, v1
	v_bfe_u32 v6, v1, 20, 11
	v_and_or_b32 v0, v5, s7, v0
	v_sub_u32_e32 v7, 0x3f1, v6
	v_or_b32_e32 v5, 0x1000, v0
	v_med3_i32 v7, v7, 0, 13
	v_lshrrev_b32_e32 v10, v7, v5
	v_lshlrev_b32_e32 v7, v7, v10
	v_mul_f16_sdwa v2, v142, v2 dst_sel:DWORD dst_unused:UNUSED_PAD src0_sel:WORD_1 src1_sel:DWORD
	v_cmp_ne_u32_e32 vcc, v7, v5
	v_fma_f16 v2, v142, v9, -v2
	v_cndmask_b32_e64 v5, 0, 1, vcc
	v_add_u32_e32 v7, 0xfffffc10, v6
	v_cvt_f32_f16_e32 v2, v2
	v_or_b32_e32 v5, v10, v5
	v_lshl_or_b32 v6, v7, 12, v0
	v_cmp_gt_i32_e32 vcc, 1, v7
	v_cndmask_b32_e32 v5, v6, v5, vcc
	v_and_b32_e32 v6, 7, v5
	v_cmp_lt_i32_e32 vcc, 5, v6
	v_cmp_eq_u32_e64 s[0:1], 3, v6
	v_lshrrev_b32_e32 v9, 2, v5
	v_cvt_f64_f32_e32 v[5:6], v2
	s_or_b64 vcc, s[0:1], vcc
	v_addc_co_u32_e32 v2, vcc, 0, v9, vcc
	v_mul_f64 v[5:6], v[5:6], s[4:5]
	v_cmp_gt_i32_e32 vcc, 31, v7
	v_cndmask_b32_e32 v2, v13, v2, vcc
	v_cmp_ne_u32_e32 vcc, 0, v0
	v_cndmask_b32_e64 v0, 0, 1, vcc
	v_lshl_or_b32 v0, v0, 9, v13
	v_cmp_eq_u32_e32 vcc, s10, v7
	v_cndmask_b32_e32 v0, v2, v0, vcc
	v_lshrrev_b32_e32 v1, 16, v1
	v_and_or_b32 v2, v1, s11, v0
	v_and_or_b32 v0, v6, s6, v5
	v_cmp_ne_u32_e32 vcc, 0, v0
	v_cndmask_b32_e64 v0, 0, 1, vcc
	v_lshrrev_b32_e32 v1, 8, v6
	v_bfe_u32 v5, v6, 20, 11
	v_and_or_b32 v0, v1, s7, v0
	v_sub_u32_e32 v7, 0x3f1, v5
	v_or_b32_e32 v1, 0x1000, v0
	v_med3_i32 v7, v7, 0, 13
	v_lshrrev_b32_e32 v9, v7, v1
	v_lshlrev_b32_e32 v7, v7, v9
	v_cmp_ne_u32_e32 vcc, v7, v1
	v_cndmask_b32_e64 v1, 0, 1, vcc
	v_add_u32_e32 v5, 0xfffffc10, v5
	v_or_b32_e32 v1, v9, v1
	v_lshl_or_b32 v7, v5, 12, v0
	v_cmp_gt_i32_e32 vcc, 1, v5
	v_cndmask_b32_e32 v1, v7, v1, vcc
	v_and_b32_e32 v7, 7, v1
	v_cmp_lt_i32_e32 vcc, 5, v7
	v_cmp_eq_u32_e64 s[0:1], 3, v7
	v_lshrrev_b32_e32 v7, 16, v8
	v_lshrrev_b32_e32 v1, 2, v1
	s_or_b64 vcc, s[0:1], vcc
	v_mul_f16_sdwa v9, v141, v7 dst_sel:DWORD dst_unused:UNUSED_PAD src0_sel:WORD_1 src1_sel:DWORD
	v_addc_co_u32_e32 v1, vcc, 0, v1, vcc
	v_fma_f16 v9, v141, v8, v9
	v_cmp_gt_i32_e32 vcc, 31, v5
	v_cvt_f32_f16_e32 v9, v9
	v_cndmask_b32_e32 v1, v13, v1, vcc
	v_cmp_ne_u32_e32 vcc, 0, v0
	v_cndmask_b32_e64 v0, 0, 1, vcc
	v_lshl_or_b32 v0, v0, 9, v13
	v_cmp_eq_u32_e32 vcc, s10, v5
	v_cndmask_b32_e32 v5, v1, v0, vcc
	v_cvt_f64_f32_e32 v[0:1], v9
	v_lshrrev_b32_e32 v6, 16, v6
	v_and_or_b32 v5, v6, s11, v5
	v_and_b32_e32 v2, 0xffff, v2
	v_mul_f64 v[0:1], v[0:1], s[4:5]
	v_lshl_or_b32 v5, v5, 16, v2
	v_mov_b32_e32 v6, s2
	v_add_co_u32_e32 v2, vcc, s3, v3
	v_addc_co_u32_e32 v3, vcc, v4, v6, vcc
	global_store_dword v[2:3], v5, off
	v_and_or_b32 v0, v1, s6, v0
	v_cmp_ne_u32_e32 vcc, 0, v0
	v_cndmask_b32_e64 v0, 0, 1, vcc
	v_lshrrev_b32_e32 v4, 8, v1
	v_bfe_u32 v5, v1, 20, 11
	v_and_or_b32 v0, v4, s7, v0
	v_sub_u32_e32 v6, 0x3f1, v5
	v_or_b32_e32 v4, 0x1000, v0
	v_med3_i32 v6, v6, 0, 13
	v_lshrrev_b32_e32 v9, v6, v4
	v_lshlrev_b32_e32 v6, v6, v9
	v_mul_f16_sdwa v8, v141, v8 dst_sel:DWORD dst_unused:UNUSED_PAD src0_sel:WORD_1 src1_sel:DWORD
	v_cmp_ne_u32_e32 vcc, v6, v4
	v_fma_f16 v7, v141, v7, -v8
	v_cndmask_b32_e64 v4, 0, 1, vcc
	v_add_u32_e32 v6, 0xfffffc10, v5
	v_cvt_f32_f16_e32 v7, v7
	v_or_b32_e32 v4, v9, v4
	v_lshl_or_b32 v5, v6, 12, v0
	v_cmp_gt_i32_e32 vcc, 1, v6
	v_cndmask_b32_e32 v4, v5, v4, vcc
	v_and_b32_e32 v5, 7, v4
	v_cmp_lt_i32_e32 vcc, 5, v5
	v_cmp_eq_u32_e64 s[0:1], 3, v5
	v_lshrrev_b32_e32 v8, 2, v4
	v_cvt_f64_f32_e32 v[4:5], v7
	s_or_b64 vcc, s[0:1], vcc
	v_addc_co_u32_e32 v7, vcc, 0, v8, vcc
	v_mul_f64 v[4:5], v[4:5], s[4:5]
	v_cmp_gt_i32_e32 vcc, 31, v6
	v_cndmask_b32_e32 v7, v13, v7, vcc
	v_cmp_ne_u32_e32 vcc, 0, v0
	v_cndmask_b32_e64 v0, 0, 1, vcc
	v_lshl_or_b32 v0, v0, 9, v13
	v_cmp_eq_u32_e32 vcc, s10, v6
	v_cndmask_b32_e32 v0, v7, v0, vcc
	v_lshrrev_b32_e32 v1, 16, v1
	v_and_or_b32 v6, v1, s11, v0
	v_and_or_b32 v0, v5, s6, v4
	v_cmp_ne_u32_e32 vcc, 0, v0
	v_cndmask_b32_e64 v0, 0, 1, vcc
	v_lshrrev_b32_e32 v1, 8, v5
	v_bfe_u32 v4, v5, 20, 11
	v_and_or_b32 v0, v1, s7, v0
	v_sub_u32_e32 v7, 0x3f1, v4
	v_or_b32_e32 v1, 0x1000, v0
	v_med3_i32 v7, v7, 0, 13
	v_lshrrev_b32_e32 v8, v7, v1
	v_lshlrev_b32_e32 v7, v7, v8
	v_cmp_ne_u32_e32 vcc, v7, v1
	v_cndmask_b32_e64 v1, 0, 1, vcc
	v_add_u32_e32 v4, 0xfffffc10, v4
	v_or_b32_e32 v1, v8, v1
	v_lshl_or_b32 v7, v4, 12, v0
	v_cmp_gt_i32_e32 vcc, 1, v4
	v_cndmask_b32_e32 v1, v7, v1, vcc
	v_and_b32_e32 v7, 7, v1
	v_cmp_lt_i32_e32 vcc, 5, v7
	v_cmp_eq_u32_e64 s[0:1], 3, v7
	ds_read_b32 v7, v139 offset:7480
	v_lshrrev_b32_e32 v1, 2, v1
	s_or_b64 vcc, s[0:1], vcc
	v_addc_co_u32_e32 v1, vcc, 0, v1, vcc
	s_waitcnt lgkmcnt(0)
	v_lshrrev_b32_e32 v8, 16, v7
	v_mul_f16_sdwa v9, v140, v8 dst_sel:DWORD dst_unused:UNUSED_PAD src0_sel:WORD_1 src1_sel:DWORD
	v_fma_f16 v9, v140, v7, v9
	v_cmp_gt_i32_e32 vcc, 31, v4
	v_cvt_f32_f16_e32 v9, v9
	v_cndmask_b32_e32 v1, v13, v1, vcc
	v_cmp_ne_u32_e32 vcc, 0, v0
	v_cndmask_b32_e64 v0, 0, 1, vcc
	v_lshl_or_b32 v0, v0, 9, v13
	v_cmp_eq_u32_e32 vcc, s10, v4
	v_cndmask_b32_e32 v4, v1, v0, vcc
	v_cvt_f64_f32_e32 v[0:1], v9
	v_lshrrev_b32_e32 v5, 16, v5
	v_and_or_b32 v4, v5, s11, v4
	v_and_b32_e32 v5, 0xffff, v6
	v_mul_f64 v[0:1], v[0:1], s[4:5]
	v_lshl_or_b32 v4, v4, 16, v5
	v_mov_b32_e32 v5, s2
	v_add_co_u32_e32 v2, vcc, s3, v2
	v_addc_co_u32_e32 v3, vcc, v3, v5, vcc
	global_store_dword v[2:3], v4, off
	v_and_or_b32 v0, v1, s6, v0
	v_cmp_ne_u32_e32 vcc, 0, v0
	v_cndmask_b32_e64 v0, 0, 1, vcc
	v_lshrrev_b32_e32 v4, 8, v1
	v_bfe_u32 v5, v1, 20, 11
	v_and_or_b32 v0, v4, s7, v0
	v_sub_u32_e32 v6, 0x3f1, v5
	v_or_b32_e32 v4, 0x1000, v0
	v_med3_i32 v6, v6, 0, 13
	v_lshrrev_b32_e32 v9, v6, v4
	v_lshlrev_b32_e32 v6, v6, v9
	v_mul_f16_sdwa v7, v140, v7 dst_sel:DWORD dst_unused:UNUSED_PAD src0_sel:WORD_1 src1_sel:DWORD
	v_cmp_ne_u32_e32 vcc, v6, v4
	v_fma_f16 v7, v140, v8, -v7
	v_cndmask_b32_e64 v4, 0, 1, vcc
	v_add_u32_e32 v6, 0xfffffc10, v5
	v_cvt_f32_f16_e32 v7, v7
	v_or_b32_e32 v4, v9, v4
	v_lshl_or_b32 v5, v6, 12, v0
	v_cmp_gt_i32_e32 vcc, 1, v6
	v_cndmask_b32_e32 v4, v5, v4, vcc
	v_and_b32_e32 v5, 7, v4
	v_cmp_lt_i32_e32 vcc, 5, v5
	v_cmp_eq_u32_e64 s[0:1], 3, v5
	v_lshrrev_b32_e32 v8, 2, v4
	v_cvt_f64_f32_e32 v[4:5], v7
	s_or_b64 vcc, s[0:1], vcc
	v_addc_co_u32_e32 v7, vcc, 0, v8, vcc
	v_mul_f64 v[4:5], v[4:5], s[4:5]
	v_cmp_gt_i32_e32 vcc, 31, v6
	v_cndmask_b32_e32 v7, v13, v7, vcc
	v_cmp_ne_u32_e32 vcc, 0, v0
	v_cndmask_b32_e64 v0, 0, 1, vcc
	v_lshl_or_b32 v0, v0, 9, v13
	v_cmp_eq_u32_e32 vcc, s10, v6
	v_cndmask_b32_e32 v0, v7, v0, vcc
	v_lshrrev_b32_e32 v1, 16, v1
	v_and_or_b32 v0, v1, s11, v0
	v_and_or_b32 v1, v5, s6, v4
	v_cmp_ne_u32_e32 vcc, 0, v1
	v_cndmask_b32_e64 v1, 0, 1, vcc
	v_lshrrev_b32_e32 v4, 8, v5
	v_bfe_u32 v6, v5, 20, 11
	v_and_or_b32 v1, v4, s7, v1
	v_sub_u32_e32 v7, 0x3f1, v6
	v_or_b32_e32 v4, 0x1000, v1
	v_med3_i32 v7, v7, 0, 13
	v_lshrrev_b32_e32 v8, v7, v4
	v_lshlrev_b32_e32 v7, v7, v8
	v_cmp_ne_u32_e32 vcc, v7, v4
	v_cndmask_b32_e64 v4, 0, 1, vcc
	v_add_u32_e32 v6, 0xfffffc10, v6
	v_or_b32_e32 v4, v8, v4
	v_lshl_or_b32 v7, v6, 12, v1
	v_cmp_gt_i32_e32 vcc, 1, v6
	v_cndmask_b32_e32 v4, v7, v4, vcc
	v_and_b32_e32 v7, 7, v4
	v_cmp_lt_i32_e32 vcc, 5, v7
	v_cmp_eq_u32_e64 s[0:1], 3, v7
	v_lshrrev_b32_e32 v4, 2, v4
	s_or_b64 vcc, s[0:1], vcc
	v_addc_co_u32_e32 v4, vcc, 0, v4, vcc
	v_cmp_gt_i32_e32 vcc, 31, v6
	v_cndmask_b32_e32 v4, v13, v4, vcc
	v_cmp_ne_u32_e32 vcc, 0, v1
	v_cndmask_b32_e64 v1, 0, 1, vcc
	v_lshl_or_b32 v1, v1, 9, v13
	v_cmp_eq_u32_e32 vcc, s10, v6
	v_cndmask_b32_e32 v1, v4, v1, vcc
	v_lshrrev_b32_e32 v4, 16, v5
	v_and_or_b32 v1, v4, s11, v1
	v_and_b32_e32 v0, 0xffff, v0
	v_lshl_or_b32 v4, v1, 16, v0
	v_mov_b32_e32 v1, s2
	v_add_co_u32_e32 v0, vcc, s3, v2
	v_addc_co_u32_e32 v1, vcc, v3, v1, vcc
	global_store_dword v[0:1], v4, off
.LBB0_10:
	s_endpgm
	.section	.rodata,"a",@progbits
	.p2align	6, 0x0
	.amdhsa_kernel bluestein_single_fwd_len1925_dim1_half_op_CI_CI
		.amdhsa_group_segment_fixed_size 7700
		.amdhsa_private_segment_fixed_size 8
		.amdhsa_kernarg_size 104
		.amdhsa_user_sgpr_count 6
		.amdhsa_user_sgpr_private_segment_buffer 1
		.amdhsa_user_sgpr_dispatch_ptr 0
		.amdhsa_user_sgpr_queue_ptr 0
		.amdhsa_user_sgpr_kernarg_segment_ptr 1
		.amdhsa_user_sgpr_dispatch_id 0
		.amdhsa_user_sgpr_flat_scratch_init 0
		.amdhsa_user_sgpr_private_segment_size 0
		.amdhsa_uses_dynamic_stack 0
		.amdhsa_system_sgpr_private_segment_wavefront_offset 1
		.amdhsa_system_sgpr_workgroup_id_x 1
		.amdhsa_system_sgpr_workgroup_id_y 0
		.amdhsa_system_sgpr_workgroup_id_z 0
		.amdhsa_system_sgpr_workgroup_info 0
		.amdhsa_system_vgpr_workitem_id 0
		.amdhsa_next_free_vgpr 256
		.amdhsa_next_free_sgpr 32
		.amdhsa_reserve_vcc 1
		.amdhsa_reserve_flat_scratch 0
		.amdhsa_float_round_mode_32 0
		.amdhsa_float_round_mode_16_64 0
		.amdhsa_float_denorm_mode_32 3
		.amdhsa_float_denorm_mode_16_64 3
		.amdhsa_dx10_clamp 1
		.amdhsa_ieee_mode 1
		.amdhsa_fp16_overflow 0
		.amdhsa_exception_fp_ieee_invalid_op 0
		.amdhsa_exception_fp_denorm_src 0
		.amdhsa_exception_fp_ieee_div_zero 0
		.amdhsa_exception_fp_ieee_overflow 0
		.amdhsa_exception_fp_ieee_underflow 0
		.amdhsa_exception_fp_ieee_inexact 0
		.amdhsa_exception_int_div_zero 0
	.end_amdhsa_kernel
	.text
.Lfunc_end0:
	.size	bluestein_single_fwd_len1925_dim1_half_op_CI_CI, .Lfunc_end0-bluestein_single_fwd_len1925_dim1_half_op_CI_CI
                                        ; -- End function
	.section	.AMDGPU.csdata,"",@progbits
; Kernel info:
; codeLenInByte = 64056
; NumSgprs: 36
; NumVgprs: 256
; ScratchSize: 8
; MemoryBound: 0
; FloatMode: 240
; IeeeMode: 1
; LDSByteSize: 7700 bytes/workgroup (compile time only)
; SGPRBlocks: 4
; VGPRBlocks: 63
; NumSGPRsForWavesPerEU: 36
; NumVGPRsForWavesPerEU: 256
; Occupancy: 1
; WaveLimiterHint : 1
; COMPUTE_PGM_RSRC2:SCRATCH_EN: 1
; COMPUTE_PGM_RSRC2:USER_SGPR: 6
; COMPUTE_PGM_RSRC2:TRAP_HANDLER: 0
; COMPUTE_PGM_RSRC2:TGID_X_EN: 1
; COMPUTE_PGM_RSRC2:TGID_Y_EN: 0
; COMPUTE_PGM_RSRC2:TGID_Z_EN: 0
; COMPUTE_PGM_RSRC2:TIDIG_COMP_CNT: 0
	.type	__hip_cuid_aef91ce3f195282,@object ; @__hip_cuid_aef91ce3f195282
	.section	.bss,"aw",@nobits
	.globl	__hip_cuid_aef91ce3f195282
__hip_cuid_aef91ce3f195282:
	.byte	0                               ; 0x0
	.size	__hip_cuid_aef91ce3f195282, 1

	.ident	"AMD clang version 19.0.0git (https://github.com/RadeonOpenCompute/llvm-project roc-6.4.0 25133 c7fe45cf4b819c5991fe208aaa96edf142730f1d)"
	.section	".note.GNU-stack","",@progbits
	.addrsig
	.addrsig_sym __hip_cuid_aef91ce3f195282
	.amdgpu_metadata
---
amdhsa.kernels:
  - .args:
      - .actual_access:  read_only
        .address_space:  global
        .offset:         0
        .size:           8
        .value_kind:     global_buffer
      - .actual_access:  read_only
        .address_space:  global
        .offset:         8
        .size:           8
        .value_kind:     global_buffer
      - .actual_access:  read_only
        .address_space:  global
        .offset:         16
        .size:           8
        .value_kind:     global_buffer
      - .actual_access:  read_only
        .address_space:  global
        .offset:         24
        .size:           8
        .value_kind:     global_buffer
      - .actual_access:  read_only
        .address_space:  global
        .offset:         32
        .size:           8
        .value_kind:     global_buffer
      - .offset:         40
        .size:           8
        .value_kind:     by_value
      - .address_space:  global
        .offset:         48
        .size:           8
        .value_kind:     global_buffer
      - .address_space:  global
        .offset:         56
        .size:           8
        .value_kind:     global_buffer
      - .address_space:  global
        .offset:         64
        .size:           8
        .value_kind:     global_buffer
      - .address_space:  global
        .offset:         72
        .size:           8
        .value_kind:     global_buffer
      - .offset:         80
        .size:           4
        .value_kind:     by_value
      - .address_space:  global
        .offset:         88
        .size:           8
        .value_kind:     global_buffer
      - .address_space:  global
        .offset:         96
        .size:           8
        .value_kind:     global_buffer
    .group_segment_fixed_size: 7700
    .kernarg_segment_align: 8
    .kernarg_segment_size: 104
    .language:       OpenCL C
    .language_version:
      - 2
      - 0
    .max_flat_workgroup_size: 55
    .name:           bluestein_single_fwd_len1925_dim1_half_op_CI_CI
    .private_segment_fixed_size: 8
    .sgpr_count:     36
    .sgpr_spill_count: 0
    .symbol:         bluestein_single_fwd_len1925_dim1_half_op_CI_CI.kd
    .uniform_work_group_size: 1
    .uses_dynamic_stack: false
    .vgpr_count:     256
    .vgpr_spill_count: 1
    .wavefront_size: 64
amdhsa.target:   amdgcn-amd-amdhsa--gfx906
amdhsa.version:
  - 1
  - 2
...

	.end_amdgpu_metadata
